;; amdgpu-corpus repo=ROCm/rocFFT kind=compiled arch=gfx950 opt=O3
	.text
	.amdgcn_target "amdgcn-amd-amdhsa--gfx950"
	.amdhsa_code_object_version 6
	.protected	bluestein_single_fwd_len330_dim1_sp_op_CI_CI ; -- Begin function bluestein_single_fwd_len330_dim1_sp_op_CI_CI
	.globl	bluestein_single_fwd_len330_dim1_sp_op_CI_CI
	.p2align	8
	.type	bluestein_single_fwd_len330_dim1_sp_op_CI_CI,@function
bluestein_single_fwd_len330_dim1_sp_op_CI_CI: ; @bluestein_single_fwd_len330_dim1_sp_op_CI_CI
; %bb.0:
	s_load_dwordx4 s[8:11], s[0:1], 0x28
	v_mul_u32_u24_e32 v1, 0x7c2, v0
	v_lshrrev_b32_e32 v2, 16, v1
	v_mad_u64_u32 v[58:59], s[2:3], s2, 3, v[2:3]
	v_mov_b32_e32 v57, 0
	v_mov_b32_e32 v59, v57
	s_waitcnt lgkmcnt(0)
	v_cmp_gt_u64_e32 vcc, s[8:9], v[58:59]
	s_and_saveexec_b64 s[2:3], vcc
	s_cbranch_execz .LBB0_23
; %bb.1:
	v_mul_lo_u16_e32 v1, 33, v2
	s_mov_b32 s4, 0xaaaaaaab
	v_sub_u16_e32 v56, v0, v1
	v_mul_hi_u32 v0, v58, s4
	s_load_dwordx2 s[2:3], s[0:1], 0x0
	s_load_dwordx2 s[8:9], s[0:1], 0x38
	v_lshrrev_b32_e32 v0, 1, v0
	v_lshl_add_u32 v0, v0, 1, v0
	v_sub_u32_e32 v0, v58, v0
	v_mul_u32_u24_e32 v122, 0x14a, v0
	v_cmp_gt_u16_e32 vcc, 30, v56
	v_lshlrev_b32_e32 v59, 3, v56
	v_lshlrev_b32_e32 v123, 3, v122
	s_and_saveexec_b64 s[12:13], vcc
	s_cbranch_execz .LBB0_3
; %bb.2:
	s_load_dwordx2 s[4:5], s[0:1], 0x18
	v_mov_b32_e32 v0, s10
	v_mov_b32_e32 v1, s11
	;; [unrolled: 1-line block ×3, first 2 shown]
	v_lshl_add_u32 v46, v56, 3, v123
	s_waitcnt lgkmcnt(0)
	s_load_dwordx4 s[4:7], s[4:5], 0x0
	v_add_u32_e32 v47, v123, v59
	s_waitcnt lgkmcnt(0)
	v_mad_u64_u32 v[2:3], s[10:11], s6, v58, 0
	v_mad_u64_u32 v[4:5], s[10:11], s4, v56, 0
	v_mov_b32_e32 v6, v3
	v_mov_b32_e32 v8, v5
	v_mad_u64_u32 v[6:7], s[6:7], s7, v58, v[6:7]
	v_mov_b32_e32 v3, v6
	v_mad_u64_u32 v[6:7], s[6:7], s5, v56, v[8:9]
	v_mov_b32_e32 v5, v6
	v_lshl_add_u64 v[0:1], v[2:3], 3, v[0:1]
	v_lshl_add_u64 v[0:1], v[4:5], 3, v[0:1]
	global_load_dwordx2 v[2:3], v[0:1], off
	v_mad_u64_u32 v[0:1], s[6:7], s4, v42, v[0:1]
	s_mul_i32 s10, s5, 0xf0
	v_add_u32_e32 v1, s10, v1
	global_load_dwordx2 v[4:5], v[0:1], off
	global_load_dwordx2 v[6:7], v59, s[2:3]
	v_mad_u64_u32 v[0:1], s[6:7], s4, v42, v[0:1]
	v_add_u32_e32 v1, s10, v1
	v_mad_u64_u32 v[8:9], s[6:7], s4, v42, v[0:1]
	v_add_u32_e32 v9, s10, v9
	global_load_dwordx2 v[10:11], v59, s[2:3] offset:240
	global_load_dwordx2 v[12:13], v59, s[2:3] offset:480
	;; [unrolled: 1-line block ×3, first 2 shown]
	global_load_dwordx2 v[16:17], v[0:1], off
	v_mad_u64_u32 v[0:1], s[6:7], s4, v42, v[8:9]
	v_add_u32_e32 v1, s10, v1
	global_load_dwordx2 v[18:19], v[8:9], off
	global_load_dwordx2 v[20:21], v[0:1], off
	v_mad_u64_u32 v[0:1], s[6:7], s4, v42, v[0:1]
	v_add_u32_e32 v1, s10, v1
	global_load_dwordx2 v[8:9], v59, s[2:3] offset:960
	global_load_dwordx2 v[22:23], v[0:1], off
	v_mad_u64_u32 v[0:1], s[6:7], s4, v42, v[0:1]
	v_add_u32_e32 v1, s10, v1
	global_load_dwordx2 v[24:25], v59, s[2:3] offset:1200
	global_load_dwordx2 v[26:27], v[0:1], off
	v_mad_u64_u32 v[0:1], s[6:7], s4, v42, v[0:1]
	v_add_u32_e32 v1, s10, v1
	global_load_dwordx2 v[28:29], v59, s[2:3] offset:1440
	global_load_dwordx2 v[30:31], v[0:1], off
	global_load_dwordx2 v[32:33], v59, s[2:3] offset:1680
	v_mad_u64_u32 v[0:1], s[6:7], s4, v42, v[0:1]
	v_add_u32_e32 v1, s10, v1
	global_load_dwordx2 v[34:35], v[0:1], off
	global_load_dwordx2 v[36:37], v59, s[2:3] offset:1920
	v_mad_u64_u32 v[0:1], s[6:7], s4, v42, v[0:1]
	v_add_u32_e32 v1, s10, v1
	global_load_dwordx2 v[38:39], v[0:1], off
	global_load_dwordx2 v[40:41], v59, s[2:3] offset:2160
	v_mad_u64_u32 v[0:1], s[4:5], s4, v42, v[0:1]
	v_add_u32_e32 v1, s10, v1
	global_load_dwordx2 v[42:43], v59, s[2:3] offset:2400
	global_load_dwordx2 v[44:45], v[0:1], off
	s_waitcnt vmcnt(19)
	v_mul_f32_e32 v0, v3, v7
	v_mul_f32_e32 v1, v2, v7
	v_fmac_f32_e32 v0, v2, v6
	v_fma_f32 v1, v3, v6, -v1
	ds_write_b64 v46, v[0:1]
	s_waitcnt vmcnt(18)
	v_mul_f32_e32 v0, v5, v11
	v_mul_f32_e32 v1, v4, v11
	s_waitcnt vmcnt(15)
	v_mul_f32_e32 v2, v17, v13
	v_mul_f32_e32 v3, v16, v13
	v_fmac_f32_e32 v0, v4, v10
	v_fma_f32 v1, v5, v10, -v1
	v_fmac_f32_e32 v2, v16, v12
	v_fma_f32 v3, v17, v12, -v3
	ds_write2_b64 v47, v[0:1], v[2:3] offset0:30 offset1:60
	s_waitcnt vmcnt(14)
	v_mul_f32_e32 v0, v19, v15
	v_mul_f32_e32 v1, v18, v15
	s_waitcnt vmcnt(12)
	v_mul_f32_e32 v2, v21, v9
	v_mul_f32_e32 v3, v20, v9
	v_fmac_f32_e32 v0, v18, v14
	v_fma_f32 v1, v19, v14, -v1
	v_fmac_f32_e32 v2, v20, v8
	v_fma_f32 v3, v21, v8, -v3
	ds_write2_b64 v47, v[0:1], v[2:3] offset0:90 offset1:120
	;; [unrolled: 11-line block ×4, first 2 shown]
	s_waitcnt vmcnt(2)
	v_mul_f32_e32 v0, v39, v41
	v_mul_f32_e32 v1, v38, v41
	s_waitcnt vmcnt(0)
	v_mul_f32_e32 v2, v45, v43
	v_mul_f32_e32 v3, v44, v43
	v_fmac_f32_e32 v0, v38, v40
	v_fma_f32 v1, v39, v40, -v1
	v_fmac_f32_e32 v2, v44, v42
	v_fma_f32 v3, v45, v42, -v3
	v_add_u32_e32 v4, 0x800, v47
	ds_write2_b64 v4, v[0:1], v[2:3] offset0:14 offset1:44
.LBB0_3:
	s_or_b64 exec, exec, s[12:13]
	s_load_dwordx2 s[4:5], s[0:1], 0x20
	s_load_dwordx2 s[10:11], s[0:1], 0x8
	v_mov_b64_e32 v[0:1], 0
	s_waitcnt lgkmcnt(0)
	s_barrier
	s_waitcnt lgkmcnt(0)
                                        ; implicit-def: $vgpr4
                                        ; implicit-def: $vgpr10
                                        ; implicit-def: $vgpr16
                                        ; implicit-def: $vgpr14
                                        ; implicit-def: $vgpr42
	s_and_saveexec_b64 s[0:1], vcc
	s_cbranch_execz .LBB0_5
; %bb.4:
	v_lshlrev_b32_e32 v0, 3, v56
	v_lshl_add_u32 v20, v122, 3, v0
	ds_read2_b64 v[0:3], v20 offset1:30
	ds_read2_b64 v[12:15], v20 offset0:60 offset1:90
	ds_read2_b64 v[8:11], v20 offset0:120 offset1:150
	;; [unrolled: 1-line block ×3, first 2 shown]
	v_add_u32_e32 v16, 0x400, v20
	ds_read2_b64 v[16:19], v16 offset0:112 offset1:142
	ds_read_b64 v[42:43], v20 offset:2400
.LBB0_5:
	s_or_b64 exec, exec, s[0:1]
	s_waitcnt lgkmcnt(0)
	v_pk_add_f32 v[38:39], v[2:3], v[42:43] neg_lo:[0,1] neg_hi:[0,1]
	s_mov_b32 s22, 0xbf0a6770
	v_pk_add_f32 v[36:37], v[42:43], v[2:3]
	v_pk_add_f32 v[32:33], v[12:13], v[18:19] neg_lo:[0,1] neg_hi:[0,1]
	s_mov_b32 s14, 0x3f575c64
	v_pk_mul_f32 v[34:35], v[38:39], s[22:23] op_sel_hi:[1,0]
	s_mov_b32 s28, 0xbf68dda4
	v_pk_add_f32 v[30:31], v[18:19], v[12:13]
	v_pk_fma_f32 v[44:45], v[36:37], s[14:15], v[34:35] op_sel:[0,0,1] op_sel_hi:[1,0,0]
	v_pk_fma_f32 v[46:47], v[36:37], s[14:15], v[34:35] op_sel:[0,0,1] op_sel_hi:[1,0,0] neg_lo:[0,0,1] neg_hi:[0,0,1]
	s_mov_b32 s6, 0x3ed4b147
	v_pk_mul_f32 v[40:41], v[32:33], s[28:29] op_sel_hi:[1,0]
	v_mov_b32_e32 v34, v44
	v_mov_b32_e32 v35, v47
	v_pk_fma_f32 v[48:49], v[30:31], s[6:7], v[40:41] op_sel:[0,0,1] op_sel_hi:[1,0,0]
	v_pk_fma_f32 v[50:51], v[30:31], s[6:7], v[40:41] op_sel:[0,0,1] op_sel_hi:[1,0,0] neg_lo:[0,0,1] neg_hi:[0,0,1]
	v_pk_add_f32 v[28:29], v[14:15], v[16:17] neg_lo:[0,1] neg_hi:[0,1]
	v_pk_add_f32 v[34:35], v[34:35], v[0:1]
	v_mov_b32_e32 v40, v48
	v_mov_b32_e32 v41, v51
	s_mov_b32 s16, 0xbf7d64f0
	v_pk_add_f32 v[26:27], v[16:17], v[14:15]
	v_pk_add_f32 v[34:35], v[40:41], v[34:35]
	s_mov_b32 s12, 0xbe11bafb
	v_pk_mul_f32 v[40:41], v[28:29], s[16:17] op_sel_hi:[1,0]
	v_pk_add_f32 v[24:25], v[8:9], v[6:7] neg_lo:[0,1] neg_hi:[0,1]
	v_pk_fma_f32 v[52:53], v[26:27], s[12:13], v[40:41] op_sel:[0,0,1] op_sel_hi:[1,0,0]
	v_pk_fma_f32 v[54:55], v[26:27], s[12:13], v[40:41] op_sel:[0,0,1] op_sel_hi:[1,0,0] neg_lo:[0,0,1] neg_hi:[0,0,1]
	v_mov_b32_e32 v40, v52
	v_mov_b32_e32 v41, v55
	s_mov_b32 s20, 0xbf4178ce
	v_pk_add_f32 v[22:23], v[6:7], v[8:9]
	v_pk_add_f32 v[34:35], v[40:41], v[34:35]
	s_mov_b32 s18, 0xbf27a4f4
	v_pk_mul_f32 v[40:41], v[24:25], s[20:21] op_sel_hi:[1,0]
	s_mov_b32 s26, 0xbe903f40
	v_pk_fma_f32 v[60:61], v[22:23], s[18:19], v[40:41] op_sel:[0,0,1] op_sel_hi:[1,0,0]
	v_pk_fma_f32 v[62:63], v[22:23], s[18:19], v[40:41] op_sel:[0,0,1] op_sel_hi:[1,0,0] neg_lo:[0,0,1] neg_hi:[0,0,1]
	v_mov_b32_e32 v40, v60
	v_mov_b32_e32 v41, v63
	v_pk_add_f32 v[34:35], v[40:41], v[34:35]
	v_pk_add_f32 v[40:41], v[10:11], v[4:5] neg_lo:[0,1] neg_hi:[0,1]
	v_pk_add_f32 v[20:21], v[4:5], v[10:11]
	s_mov_b32 s24, 0xbf75a155
	v_pk_mul_f32 v[66:67], v[40:41], s[26:27] op_sel_hi:[1,0]
	s_nop 0
	v_pk_fma_f32 v[64:65], v[20:21], s[24:25], v[66:67] op_sel:[0,0,1] op_sel_hi:[1,0,0]
	v_pk_fma_f32 v[66:67], v[20:21], s[24:25], v[66:67] op_sel:[0,0,1] op_sel_hi:[1,0,0] neg_lo:[0,0,1] neg_hi:[0,0,1]
	v_mov_b32_e32 v68, v64
	v_mov_b32_e32 v69, v67
	v_pk_add_f32 v[34:35], v[68:69], v[34:35]
	s_barrier
	s_and_saveexec_b64 s[0:1], vcc
	s_cbranch_execz .LBB0_7
; %bb.6:
	v_pk_add_f32 v[2:3], v[2:3], v[0:1]
	v_mov_b32_e32 v47, v45
	v_pk_add_f32 v[2:3], v[12:13], v[2:3]
	v_mov_b32_e32 v51, v49
	;; [unrolled: 2-line block ×5, first 2 shown]
	v_pk_add_f32 v[2:3], v[4:5], v[2:3]
	v_mul_lo_u16_e32 v4, 11, v56
	v_add_lshl_u32 v94, v122, v4, 3
	v_pk_add_f32 v[4:5], v[46:47], v[0:1]
	v_pk_add_f32 v[2:3], v[6:7], v[2:3]
	;; [unrolled: 1-line block ×9, first 2 shown]
	ds_write2_b64 v94, v[2:3], v[4:5] offset1:1
	v_pk_mul_f32 v[2:3], v[38:39], s[28:29] op_sel_hi:[1,0]
	v_pk_mul_f32 v[8:9], v[32:33], s[20:21] op_sel_hi:[1,0]
	v_pk_fma_f32 v[4:5], v[36:37], s[6:7], v[2:3] op_sel:[0,0,1] op_sel_hi:[1,0,0] neg_lo:[0,0,1] neg_hi:[0,0,1]
	v_pk_fma_f32 v[2:3], v[36:37], s[6:7], v[2:3] op_sel:[0,0,1] op_sel_hi:[1,0,0]
	v_mov_b32_e32 v6, v4
	v_mov_b32_e32 v7, v3
	v_pk_fma_f32 v[10:11], v[30:31], s[18:19], v[8:9] op_sel:[0,0,1] op_sel_hi:[1,0,0] neg_lo:[0,0,1] neg_hi:[0,0,1]
	v_pk_fma_f32 v[8:9], v[30:31], s[18:19], v[8:9] op_sel:[0,0,1] op_sel_hi:[1,0,0]
	v_pk_add_f32 v[6:7], v[6:7], v[0:1]
	v_mov_b32_e32 v12, v10
	v_mov_b32_e32 v13, v9
	s_mov_b32 s28, 0x3e903f40
	v_pk_add_f32 v[6:7], v[12:13], v[6:7]
	v_pk_mul_f32 v[12:13], v[28:29], s[28:29] op_sel_hi:[1,0]
	s_mov_b32 s30, 0x3f7d64f0
	v_pk_fma_f32 v[14:15], v[26:27], s[24:25], v[12:13] op_sel:[0,0,1] op_sel_hi:[1,0,0] neg_lo:[0,0,1] neg_hi:[0,0,1]
	v_pk_fma_f32 v[12:13], v[26:27], s[24:25], v[12:13] op_sel:[0,0,1] op_sel_hi:[1,0,0]
	v_mov_b32_e32 v16, v14
	v_mov_b32_e32 v17, v13
	v_pk_add_f32 v[6:7], v[16:17], v[6:7]
	v_pk_mul_f32 v[16:17], v[24:25], s[30:31] op_sel_hi:[1,0]
	s_mov_b32 s34, 0x3f0a6770
	v_pk_fma_f32 v[18:19], v[22:23], s[12:13], v[16:17] op_sel:[0,0,1] op_sel_hi:[1,0,0] neg_lo:[0,0,1] neg_hi:[0,0,1]
	v_pk_fma_f32 v[16:17], v[22:23], s[12:13], v[16:17] op_sel:[0,0,1] op_sel_hi:[1,0,0]
	v_mov_b32_e32 v42, v18
	v_mov_b32_e32 v43, v17
	v_pk_add_f32 v[6:7], v[42:43], v[6:7]
	v_pk_mul_f32 v[42:43], v[40:41], s[34:35] op_sel_hi:[1,0]
	v_pk_mul_f32 v[52:53], v[32:33], s[28:29] op_sel_hi:[1,0]
	v_pk_fma_f32 v[44:45], v[20:21], s[14:15], v[42:43] op_sel:[0,0,1] op_sel_hi:[1,0,0] neg_lo:[0,0,1] neg_hi:[0,0,1]
	v_pk_fma_f32 v[42:43], v[20:21], s[14:15], v[42:43] op_sel:[0,0,1] op_sel_hi:[1,0,0]
	v_mov_b32_e32 v46, v44
	v_mov_b32_e32 v47, v43
	v_pk_add_f32 v[6:7], v[46:47], v[6:7]
	v_pk_mul_f32 v[46:47], v[38:39], s[16:17] op_sel_hi:[1,0]
	v_pk_fma_f32 v[54:55], v[30:31], s[24:25], v[52:53] op_sel:[0,0,1] op_sel_hi:[1,0,0] neg_lo:[0,0,1] neg_hi:[0,0,1]
	v_pk_fma_f32 v[48:49], v[36:37], s[12:13], v[46:47] op_sel:[0,0,1] op_sel_hi:[1,0,0] neg_lo:[0,0,1] neg_hi:[0,0,1]
	v_pk_fma_f32 v[46:47], v[36:37], s[12:13], v[46:47] op_sel:[0,0,1] op_sel_hi:[1,0,0]
	v_mov_b32_e32 v50, v48
	v_mov_b32_e32 v51, v47
	v_pk_fma_f32 v[52:53], v[30:31], s[24:25], v[52:53] op_sel:[0,0,1] op_sel_hi:[1,0,0]
	v_pk_add_f32 v[50:51], v[50:51], v[0:1]
	v_mov_b32_e32 v60, v54
	v_mov_b32_e32 v61, v53
	s_mov_b32 s28, 0x3f68dda4
	v_pk_add_f32 v[50:51], v[60:61], v[50:51]
	v_pk_mul_f32 v[60:61], v[28:29], s[28:29] op_sel_hi:[1,0]
	v_pk_mul_f32 v[74:75], v[32:33], s[30:31] op_sel_hi:[1,0]
	v_pk_fma_f32 v[62:63], v[26:27], s[6:7], v[60:61] op_sel:[0,0,1] op_sel_hi:[1,0,0] neg_lo:[0,0,1] neg_hi:[0,0,1]
	v_pk_fma_f32 v[60:61], v[26:27], s[6:7], v[60:61] op_sel:[0,0,1] op_sel_hi:[1,0,0]
	v_mov_b32_e32 v64, v62
	v_mov_b32_e32 v65, v61
	v_pk_add_f32 v[50:51], v[64:65], v[50:51]
	v_pk_mul_f32 v[64:65], v[24:25], s[22:23] op_sel_hi:[1,0]
	v_pk_fma_f32 v[76:77], v[30:31], s[12:13], v[74:75] op_sel:[0,0,1] op_sel_hi:[1,0,0] neg_lo:[0,0,1] neg_hi:[0,0,1]
	v_pk_fma_f32 v[66:67], v[22:23], s[14:15], v[64:65] op_sel:[0,0,1] op_sel_hi:[1,0,0] neg_lo:[0,0,1] neg_hi:[0,0,1]
	v_pk_fma_f32 v[64:65], v[22:23], s[14:15], v[64:65] op_sel:[0,0,1] op_sel_hi:[1,0,0]
	v_mov_b32_e32 v68, v66
	v_mov_b32_e32 v69, v65
	v_pk_add_f32 v[50:51], v[68:69], v[50:51]
	v_pk_mul_f32 v[68:69], v[40:41], s[20:21] op_sel_hi:[1,0]
	v_pk_fma_f32 v[74:75], v[30:31], s[12:13], v[74:75] op_sel:[0,0,1] op_sel_hi:[1,0,0]
	v_pk_fma_f32 v[70:71], v[20:21], s[18:19], v[68:69] op_sel:[0,0,1] op_sel_hi:[1,0,0] neg_lo:[0,0,1] neg_hi:[0,0,1]
	v_pk_fma_f32 v[68:69], v[20:21], s[18:19], v[68:69] op_sel:[0,0,1] op_sel_hi:[1,0,0]
	v_mov_b32_e32 v72, v70
	v_mov_b32_e32 v73, v69
	v_pk_add_f32 v[50:51], v[72:73], v[50:51]
	ds_write2_b64 v94, v[6:7], v[50:51] offset0:2 offset1:3
	v_pk_mul_f32 v[6:7], v[38:39], s[20:21] op_sel_hi:[1,0]
	v_mov_b32_e32 v78, v76
	v_pk_fma_f32 v[50:51], v[36:37], s[18:19], v[6:7] op_sel:[0,0,1] op_sel_hi:[1,0,0] neg_lo:[0,0,1] neg_hi:[0,0,1]
	v_pk_fma_f32 v[6:7], v[36:37], s[18:19], v[6:7] op_sel:[0,0,1] op_sel_hi:[1,0,0]
	v_mov_b32_e32 v72, v50
	v_mov_b32_e32 v73, v7
	v_pk_add_f32 v[72:73], v[72:73], v[0:1]
	v_mov_b32_e32 v79, v75
	v_pk_add_f32 v[72:73], v[78:79], v[72:73]
	v_pk_mul_f32 v[78:79], v[28:29], s[22:23] op_sel_hi:[1,0]
	v_pk_mul_f32 v[38:39], v[38:39], s[26:27] op_sel_hi:[1,0]
	v_pk_fma_f32 v[80:81], v[26:27], s[14:15], v[78:79] op_sel:[0,0,1] op_sel_hi:[1,0,0] neg_lo:[0,0,1] neg_hi:[0,0,1]
	v_pk_fma_f32 v[78:79], v[26:27], s[14:15], v[78:79] op_sel:[0,0,1] op_sel_hi:[1,0,0]
	v_mov_b32_e32 v82, v80
	v_mov_b32_e32 v83, v79
	v_pk_add_f32 v[72:73], v[82:83], v[72:73]
	v_pk_mul_f32 v[82:83], v[24:25], s[26:27] op_sel_hi:[1,0]
	v_pk_mul_f32 v[32:33], v[32:33], s[34:35] op_sel_hi:[1,0]
	v_pk_fma_f32 v[84:85], v[22:23], s[24:25], v[82:83] op_sel:[0,0,1] op_sel_hi:[1,0,0] neg_lo:[0,0,1] neg_hi:[0,0,1]
	v_pk_fma_f32 v[82:83], v[22:23], s[24:25], v[82:83] op_sel:[0,0,1] op_sel_hi:[1,0,0]
	v_mov_b32_e32 v86, v84
	;; [unrolled: 7-line block ×3, first 2 shown]
	v_mov_b32_e32 v91, v87
	v_pk_add_f32 v[72:73], v[90:91], v[72:73]
	v_pk_fma_f32 v[90:91], v[36:37], s[24:25], v[38:39] op_sel:[0,0,1] op_sel_hi:[1,0,0] neg_lo:[0,0,1] neg_hi:[0,0,1]
	v_pk_fma_f32 v[36:37], v[36:37], s[24:25], v[38:39] op_sel:[0,0,1] op_sel_hi:[1,0,0]
	v_pk_fma_f32 v[38:39], v[30:31], s[14:15], v[32:33] op_sel:[0,0,1] op_sel_hi:[1,0,0] neg_lo:[0,0,1] neg_hi:[0,0,1]
	v_pk_fma_f32 v[30:31], v[30:31], s[14:15], v[32:33] op_sel:[0,0,1] op_sel_hi:[1,0,0]
	v_mov_b32_e32 v32, v90
	v_mov_b32_e32 v33, v37
	v_pk_add_f32 v[32:33], v[32:33], v[0:1]
	v_mov_b32_e32 v92, v38
	v_mov_b32_e32 v93, v31
	v_pk_add_f32 v[32:33], v[92:93], v[32:33]
	v_pk_fma_f32 v[92:93], v[26:27], s[18:19], v[28:29] op_sel:[0,0,1] op_sel_hi:[1,0,0] neg_lo:[0,0,1] neg_hi:[0,0,1]
	v_pk_fma_f32 v[26:27], v[26:27], s[18:19], v[28:29] op_sel:[0,0,1] op_sel_hi:[1,0,0]
	v_mov_b32_e32 v28, v92
	v_mov_b32_e32 v29, v27
	v_pk_mul_f32 v[24:25], v[24:25], s[28:29] op_sel_hi:[1,0]
	v_pk_add_f32 v[28:29], v[28:29], v[32:33]
	v_pk_fma_f32 v[32:33], v[22:23], s[6:7], v[24:25] op_sel:[0,0,1] op_sel_hi:[1,0,0] neg_lo:[0,0,1] neg_hi:[0,0,1]
	v_pk_fma_f32 v[22:23], v[22:23], s[6:7], v[24:25] op_sel:[0,0,1] op_sel_hi:[1,0,0]
	v_mov_b32_e32 v24, v32
	v_mov_b32_e32 v25, v23
	v_pk_add_f32 v[24:25], v[24:25], v[28:29]
	v_pk_mul_f32 v[28:29], v[40:41], s[16:17] op_sel_hi:[1,0]
	v_mov_b32_e32 v37, v91
	v_pk_fma_f32 v[40:41], v[20:21], s[12:13], v[28:29] op_sel:[0,0,1] op_sel_hi:[1,0,0] neg_lo:[0,0,1] neg_hi:[0,0,1]
	v_pk_fma_f32 v[20:21], v[20:21], s[12:13], v[28:29] op_sel:[0,0,1] op_sel_hi:[1,0,0]
	v_mov_b32_e32 v28, v40
	v_mov_b32_e32 v29, v21
	v_pk_add_f32 v[24:25], v[28:29], v[24:25]
	v_mov_b32_e32 v7, v51
	ds_write2_b64 v94, v[72:73], v[24:25] offset0:4 offset1:5
	v_mov_b32_e32 v31, v39
	v_pk_add_f32 v[24:25], v[36:37], v[0:1]
	v_mov_b32_e32 v75, v77
	v_pk_add_f32 v[6:7], v[6:7], v[0:1]
	v_pk_add_f32 v[24:25], v[30:31], v[24:25]
	v_mov_b32_e32 v27, v93
	v_pk_add_f32 v[6:7], v[74:75], v[6:7]
	v_mov_b32_e32 v79, v81
	;; [unrolled: 2-line block ×6, first 2 shown]
	v_pk_add_f32 v[20:21], v[20:21], v[22:23]
	v_pk_add_f32 v[6:7], v[86:87], v[6:7]
	v_mov_b32_e32 v47, v49
	v_mov_b32_e32 v3, v5
	ds_write2_b64 v94, v[20:21], v[6:7] offset0:6 offset1:7
	v_pk_add_f32 v[6:7], v[46:47], v[0:1]
	v_mov_b32_e32 v53, v55
	v_pk_add_f32 v[0:1], v[2:3], v[0:1]
	v_mov_b32_e32 v9, v11
	;; [unrolled: 2-line block ×8, first 2 shown]
	v_pk_add_f32 v[6:7], v[68:69], v[6:7]
	v_pk_add_f32 v[0:1], v[42:43], v[0:1]
	ds_write2_b64 v94, v[6:7], v[0:1] offset0:8 offset1:9
	ds_write_b64 v94, v[34:35] offset:80
.LBB0_7:
	s_or_b64 exec, exec, s[0:1]
	s_movk_i32 s0, 0x75
	v_mul_lo_u16_sdwa v0, v56, s0 dst_sel:DWORD dst_unused:UNUSED_PAD src0_sel:BYTE_0 src1_sel:DWORD
	v_sub_u16_sdwa v1, v56, v0 dst_sel:DWORD dst_unused:UNUSED_PAD src0_sel:DWORD src1_sel:BYTE_1
	v_lshrrev_b16_e32 v1, 1, v1
	v_and_b32_e32 v1, 0x7f, v1
	v_add_u16_sdwa v0, v1, v0 dst_sel:DWORD dst_unused:UNUSED_PAD src0_sel:DWORD src1_sel:BYTE_1
	v_lshrrev_b16_e32 v32, 3, v0
	v_mul_lo_u16_e32 v0, 11, v32
	v_sub_u16_e32 v0, v56, v0
	v_and_b32_e32 v33, 0xff, v0
	s_movk_i32 s0, 0x48
	v_mov_b64_e32 v[0:1], s[10:11]
	v_mad_u64_u32 v[16:17], s[0:1], v33, s0, v[0:1]
	s_load_dwordx4 s[4:7], s[4:5], 0x0
	s_waitcnt lgkmcnt(0)
	s_barrier
	global_load_dwordx4 v[12:15], v[16:17], off
	global_load_dwordx4 v[8:11], v[16:17], off offset:16
	global_load_dwordx4 v[4:7], v[16:17], off offset:32
	;; [unrolled: 1-line block ×3, first 2 shown]
	global_load_dwordx2 v[60:61], v[16:17], off offset:64
	v_add_lshl_u32 v124, v122, v56, 3
	ds_read2_b64 v[16:19], v124 offset1:33
	ds_read2_b64 v[20:23], v124 offset0:66 offset1:99
	ds_read2_b64 v[24:27], v124 offset0:132 offset1:165
	;; [unrolled: 1-line block ×3, first 2 shown]
	v_add_u32_e32 v36, 0x800, v124
	ds_read2_b64 v[36:39], v36 offset0:8 offset1:41
	v_mul_u32_u24_e32 v32, 0x6e, v32
	v_add_u32_e32 v66, v32, v33
	s_mov_b32 s0, 0x3f737871
	s_mov_b32 s14, 0x3f167918
	;; [unrolled: 1-line block ×5, first 2 shown]
	v_add_lshl_u32 v125, v122, v66, 3
	s_waitcnt lgkmcnt(0)
	s_barrier
	s_waitcnt vmcnt(4)
	v_mov_b32_e32 v32, v15
	s_waitcnt vmcnt(3)
	v_mov_b32_e32 v40, v11
	;; [unrolled: 2-line block ×4, first 2 shown]
	v_pk_mul_f32 v[46:47], v[22:23], v[8:9] op_sel:[0,1]
	v_pk_mul_f32 v[48:49], v[26:27], v[4:5] op_sel:[0,1]
	;; [unrolled: 1-line block ×3, first 2 shown]
	s_waitcnt vmcnt(0)
	v_pk_mul_f32 v[52:53], v[38:39], v[60:61] op_sel:[0,1]
	v_pk_mul_f32 v[54:55], v[18:19], v[12:13] op_sel:[0,1]
	v_pk_mul_f32 v[32:33], v[20:21], v[32:33] op_sel_hi:[1,0]
	v_pk_mul_f32 v[40:41], v[24:25], v[40:41] op_sel_hi:[1,0]
	;; [unrolled: 1-line block ×4, first 2 shown]
	v_pk_fma_f32 v[62:63], v[22:23], v[8:9], v[46:47] op_sel:[0,0,1] op_sel_hi:[1,1,0] neg_lo:[0,0,1] neg_hi:[0,0,1]
	v_pk_fma_f32 v[22:23], v[22:23], v[8:9], v[46:47] op_sel:[0,0,1] op_sel_hi:[1,0,0]
	v_pk_fma_f32 v[46:47], v[26:27], v[4:5], v[48:49] op_sel:[0,0,1] op_sel_hi:[1,1,0] neg_lo:[0,0,1] neg_hi:[0,0,1]
	v_pk_fma_f32 v[26:27], v[26:27], v[4:5], v[48:49] op_sel:[0,0,1] op_sel_hi:[1,0,0]
	;; [unrolled: 2-line block ×5, first 2 shown]
	v_pk_fma_f32 v[54:55], v[20:21], v[14:15], v[32:33] op_sel:[0,0,1] op_sel_hi:[1,0,0]
	v_pk_fma_f32 v[20:21], v[20:21], v[14:15], v[32:33] op_sel:[0,0,1] op_sel_hi:[1,0,0] neg_lo:[0,0,1] neg_hi:[0,0,1]
	v_pk_fma_f32 v[32:33], v[24:25], v[10:11], v[40:41] op_sel:[0,0,1] op_sel_hi:[1,0,0]
	v_pk_fma_f32 v[24:25], v[24:25], v[10:11], v[40:41] op_sel:[0,0,1] op_sel_hi:[1,0,0] neg_lo:[0,0,1] neg_hi:[0,0,1]
	;; [unrolled: 2-line block ×4, first 2 shown]
	v_mov_b32_e32 v47, v27
	v_mov_b32_e32 v49, v31
	;; [unrolled: 1-line block ×9, first 2 shown]
	v_pk_add_f32 v[18:19], v[46:47], v[48:49]
	v_pk_add_f32 v[22:23], v[62:63], v[50:51] neg_lo:[0,1] neg_hi:[0,1]
	v_pk_add_f32 v[38:39], v[20:21], v[24:25] neg_lo:[0,1] neg_hi:[0,1]
	;; [unrolled: 1-line block ×3, first 2 shown]
	v_pk_fma_f32 v[18:19], v[18:19], 0.5, v[52:53] op_sel_hi:[1,0,1] neg_lo:[1,0,0] neg_hi:[1,0,0]
	v_pk_add_f32 v[26:27], v[46:47], v[48:49] neg_lo:[0,1] neg_hi:[0,1]
	v_pk_add_f32 v[30:31], v[62:63], v[46:47] neg_lo:[0,1] neg_hi:[0,1]
	;; [unrolled: 1-line block ×3, first 2 shown]
	v_pk_add_f32 v[38:39], v[38:39], v[40:41]
	v_pk_fma_f32 v[40:41], v[22:23], s[0:1], v[18:19] op_sel:[0,0,1] op_sel_hi:[1,0,0] neg_lo:[1,0,0] neg_hi:[1,0,0]
	v_pk_fma_f32 v[18:19], v[22:23], s[0:1], v[18:19] op_sel:[0,0,1] op_sel_hi:[1,0,0]
	v_pk_add_f32 v[30:31], v[30:31], v[32:33]
	v_pk_fma_f32 v[40:41], v[26:27], s[14:15], v[40:41] op_sel_hi:[1,0,1] neg_lo:[1,0,0] neg_hi:[1,0,0]
	v_pk_fma_f32 v[18:19], v[26:27], s[14:15], v[18:19] op_sel_hi:[1,0,1]
	v_pk_mul_f32 v[30:31], v[30:31], s[12:13] op_sel_hi:[1,0]
	v_mov_b32_e32 v45, v41
	v_mov_b32_e32 v41, v19
	v_pk_add_f32 v[40:41], v[30:31], v[40:41] op_sel:[1,0] op_sel_hi:[0,1]
	v_pk_add_f32 v[32:33], v[24:25], v[28:29]
	v_pk_mul_f32 v[54:55], v[40:41], s[14:15] op_sel_hi:[1,0]
	v_pk_add_f32 v[42:43], v[20:21], v[36:37] neg_lo:[0,1] neg_hi:[0,1]
	v_pk_fma_f32 v[32:33], v[32:33], 0.5, v[16:17] op_sel_hi:[1,0,1] neg_lo:[1,0,0] neg_hi:[1,0,0]
	v_pk_fma_f32 v[64:65], v[40:41], s[16:17], v[54:55] op_sel:[0,0,1] op_sel_hi:[1,0,0]
	v_pk_fma_f32 v[40:41], v[40:41], s[16:17], v[54:55] op_sel:[0,0,1] op_sel_hi:[1,0,0] neg_lo:[0,0,1] neg_hi:[0,0,1]
	v_mov_b32_e32 v54, v65
	v_mov_b32_e32 v55, v40
	v_pk_fma_f32 v[40:41], v[42:43], s[0:1], v[32:33] op_sel:[1,0,0] op_sel_hi:[0,0,1]
	v_pk_fma_f32 v[32:33], v[42:43], s[0:1], v[32:33] op_sel:[1,0,0] op_sel_hi:[0,0,1] neg_lo:[1,0,0] neg_hi:[1,0,0]
	v_pk_add_f32 v[64:65], v[24:25], v[28:29] neg_lo:[0,1] neg_hi:[0,1]
	v_pk_add_f32 v[66:67], v[52:53], v[62:63]
	v_pk_add_f32 v[68:69], v[16:17], v[20:21]
	v_pk_fma_f32 v[40:41], v[64:65], s[14:15], v[40:41] op_sel:[1,0,0] op_sel_hi:[0,0,1]
	v_pk_fma_f32 v[32:33], v[64:65], s[14:15], v[32:33] op_sel:[1,0,0] op_sel_hi:[0,0,1] neg_lo:[1,0,0] neg_hi:[1,0,0]
	v_pk_add_f32 v[66:67], v[66:67], v[46:47]
	v_pk_add_f32 v[68:69], v[68:69], v[24:25]
	;; [unrolled: 1-line block ×4, first 2 shown]
	v_mov_b32_e32 v71, v41
	v_mov_b32_e32 v41, v33
	v_pk_add_f32 v[66:67], v[66:67], v[50:51]
	v_pk_add_f32 v[68:69], v[68:69], v[36:37]
	v_pk_fma_f32 v[40:41], v[38:39], s[12:13], v[40:41] op_sel_hi:[1,0,1]
	v_pk_add_f32 v[72:73], v[68:69], v[66:67]
	v_pk_add_f32 v[74:75], v[40:41], v[54:55]
	v_mov_b32_e32 v44, v18
	ds_write2_b64 v125, v[72:73], v[74:75] offset1:11
	v_pk_add_f32 v[72:73], v[20:21], v[36:37]
	v_pk_add_f32 v[18:19], v[30:31], v[44:45] op_sel:[1,0] op_sel_hi:[0,1]
	v_pk_fma_f32 v[16:17], v[72:73], 0.5, v[16:17] op_sel_hi:[1,0,1] neg_lo:[1,0,0] neg_hi:[1,0,0]
	v_pk_mul_f32 v[30:31], v[18:19], s[16:17] op_sel_hi:[1,0]
	v_pk_add_f32 v[20:21], v[24:25], v[20:21] neg_lo:[0,1] neg_hi:[0,1]
	v_pk_add_f32 v[24:25], v[28:29], v[36:37] neg_lo:[0,1] neg_hi:[0,1]
	v_pk_fma_f32 v[18:19], v[18:19], s[14:15], v[30:31] op_sel:[0,0,1] op_sel_hi:[1,1,0] neg_lo:[0,0,1] neg_hi:[0,0,1]
	v_pk_add_f32 v[20:21], v[20:21], v[24:25]
	v_pk_fma_f32 v[24:25], v[64:65], s[0:1], v[16:17] op_sel:[1,0,0] op_sel_hi:[0,0,1] neg_lo:[1,0,0] neg_hi:[1,0,0]
	v_pk_fma_f32 v[16:17], v[64:65], s[0:1], v[16:17] op_sel:[1,0,0] op_sel_hi:[0,0,1]
	v_pk_add_f32 v[30:31], v[62:63], v[50:51]
	v_pk_fma_f32 v[16:17], v[42:43], s[14:15], v[16:17] op_sel:[1,0,0] op_sel_hi:[0,0,1] neg_lo:[1,0,0] neg_hi:[1,0,0]
	v_pk_fma_f32 v[24:25], v[42:43], s[14:15], v[24:25] op_sel:[1,0,0] op_sel_hi:[0,0,1]
	v_pk_fma_f32 v[30:31], v[30:31], 0.5, v[52:53] op_sel_hi:[1,0,1] neg_lo:[1,0,0] neg_hi:[1,0,0]
	v_pk_add_f32 v[36:37], v[46:47], v[62:63] neg_lo:[0,1] neg_hi:[0,1]
	v_pk_add_f32 v[42:43], v[48:49], v[50:51] neg_lo:[0,1] neg_hi:[0,1]
	v_pk_mul_f32 v[26:27], v[26:27], s[0:1] op_sel_hi:[1,0]
	v_pk_add_f32 v[36:37], v[36:37], v[42:43]
	v_pk_mul_f32 v[22:23], v[22:23], s[14:15] op_sel_hi:[1,0]
	v_pk_add_f32 v[42:43], v[30:31], v[26:27] op_sel:[0,1] op_sel_hi:[1,0] neg_lo:[0,1] neg_hi:[0,1]
	v_pk_add_f32 v[26:27], v[30:31], v[26:27] op_sel:[0,1] op_sel_hi:[1,0]
	v_mov_b32_e32 v28, v24
	v_pk_add_f32 v[26:27], v[26:27], v[22:23] op_sel:[0,1] op_sel_hi:[1,0] neg_lo:[0,1] neg_hi:[0,1]
	v_pk_add_f32 v[22:23], v[42:43], v[22:23] op_sel:[0,1] op_sel_hi:[1,0]
	v_mov_b32_e32 v31, v27
	v_mov_b32_e32 v30, v22
	;; [unrolled: 1-line block ×3, first 2 shown]
	v_pk_fma_f32 v[30:31], v[36:37], s[12:13], v[30:31] op_sel_hi:[1,0,1]
	v_mov_b32_e32 v17, v25
	v_mov_b32_e32 v27, v23
	v_pk_fma_f32 v[28:29], v[20:21], s[12:13], v[28:29] op_sel_hi:[1,0,1]
	v_pk_mul_f32 v[42:43], v[30:31], s[0:1] op_sel_hi:[1,0]
	v_pk_fma_f32 v[16:17], v[20:21], s[12:13], v[16:17] op_sel_hi:[1,0,1]
	v_pk_fma_f32 v[20:21], v[36:37], s[12:13], v[26:27] op_sel_hi:[1,0,1]
	v_pk_fma_f32 v[44:45], v[30:31], s[12:13], v[42:43] op_sel:[0,0,1] op_sel_hi:[1,0,0]
	v_pk_fma_f32 v[30:31], v[30:31], s[12:13], v[42:43] op_sel:[0,0,1] op_sel_hi:[1,0,0] neg_lo:[0,0,1] neg_hi:[0,0,1]
	s_mov_b32 s14, 0xbf737871
	s_mov_b32 s15, s0
	v_pk_mul_f32 v[22:23], v[20:21], s[12:13] op_sel_hi:[1,0]
	v_mov_b32_e32 v70, v32
	v_mov_b32_e32 v45, v31
	v_pk_fma_f32 v[20:21], v[20:21], s[14:15], v[22:23] op_sel:[0,0,1] op_sel_hi:[1,1,0] neg_lo:[0,0,1] neg_hi:[0,0,1]
	v_pk_fma_f32 v[38:39], v[38:39], s[12:13], v[70:71] op_sel_hi:[1,0,1]
	v_pk_add_f32 v[30:31], v[28:29], v[44:45]
	v_pk_add_f32 v[22:23], v[16:17], v[20:21] op_sel:[0,1] op_sel_hi:[1,0]
	v_pk_add_f32 v[32:33], v[38:39], v[18:19] neg_lo:[0,1] neg_hi:[0,1]
	ds_write2_b64 v125, v[30:31], v[22:23] offset0:22 offset1:33
	v_pk_add_f32 v[18:19], v[38:39], v[18:19]
	v_pk_add_f32 v[22:23], v[68:69], v[66:67] neg_lo:[0,1] neg_hi:[0,1]
	ds_write2_b64 v125, v[18:19], v[22:23] offset0:44 offset1:55
	v_pk_add_f32 v[18:19], v[40:41], v[54:55] neg_lo:[0,1] neg_hi:[0,1]
	v_pk_add_f32 v[22:23], v[28:29], v[44:45] neg_lo:[0,1] neg_hi:[0,1]
	v_pk_add_f32 v[16:17], v[16:17], v[20:21] op_sel:[0,1] op_sel_hi:[1,0] neg_lo:[0,1] neg_hi:[0,1]
	ds_write2_b64 v125, v[18:19], v[22:23] offset0:66 offset1:77
	ds_write2_b64 v125, v[16:17], v[32:33] offset0:88 offset1:99
	s_waitcnt lgkmcnt(0)
	s_barrier
	ds_read2_b64 v[46:49], v124 offset1:33
	ds_read2_b64 v[38:41], v124 offset0:66 offset1:110
	ds_read2_b64 v[42:45], v124 offset0:220 offset1:253
	;; [unrolled: 1-line block ×3, first 2 shown]
	ds_read_b64 v[36:37], v124 offset:2288
	v_cmp_gt_u16_e64 s[0:1], 11, v56
                                        ; implicit-def: $vgpr54
                                        ; implicit-def: $vgpr62
	s_and_saveexec_b64 s[12:13], s[0:1]
	s_cbranch_execz .LBB0_9
; %bb.8:
	ds_read_b64 v[54:55], v124 offset:2552
	ds_read2_b64 v[32:35], v124 offset0:99 offset1:209
	s_waitcnt lgkmcnt(1)
	v_mov_b32_e32 v62, v55
.LBB0_9:
	s_or_b64 exec, exec, s[12:13]
	v_lshlrev_b32_e32 v16, 4, v56
	v_add_u32_e32 v17, 0x210, v16
	global_load_dwordx4 v[24:27], v16, s[10:11] offset:792
	global_load_dwordx4 v[20:23], v17, s[10:11] offset:792
	v_add_u32_e32 v16, 0x420, v16
	s_mov_b64 s[12:13], 0x63
	global_load_dwordx4 v[28:31], v16, s[10:11] offset:792
	v_lshl_add_u64 v[16:17], v[56:57], 0, -11
	v_lshl_add_u64 v[18:19], v[56:57], 0, s[12:13]
	v_cndmask_b32_e64 v17, v17, v19, s[0:1]
	v_cndmask_b32_e64 v16, v16, v18, s[0:1]
	v_lshl_add_u64 v[16:17], v[16:17], 4, s[10:11]
	global_load_dwordx4 v[16:19], v[16:17], off offset:792
	s_waitcnt lgkmcnt(0)
	v_mov_b32_e32 v64, v35
	s_mov_b32 s10, 0x3f5db3d7
	v_lshl_add_u32 v57, v56, 3, v123
	v_add_u32_e32 v126, v59, v123
	s_waitcnt vmcnt(3)
	v_pk_mul_f32 v[66:67], v[40:41], v[24:25] op_sel:[0,1]
	v_mov_b32_e32 v68, v27
	s_waitcnt vmcnt(2)
	v_pk_mul_f32 v[72:73], v[50:51], v[20:21] op_sel:[1,0] op_sel_hi:[0,1]
	v_mov_b32_e32 v74, v23
	v_pk_fma_f32 v[78:79], v[40:41], v[24:25], v[66:67] op_sel:[0,0,1] op_sel_hi:[1,1,0] neg_lo:[0,0,1] neg_hi:[0,0,1]
	v_pk_fma_f32 v[40:41], v[40:41], v[24:25], v[66:67] op_sel:[0,0,1] op_sel_hi:[1,0,0]
	v_pk_mul_f32 v[66:67], v[42:43], v[68:69] op_sel_hi:[1,0]
	v_mov_b32_e32 v70, v21
	v_pk_mul_f32 v[76:77], v[44:45], v[22:23] op_sel:[1,0] op_sel_hi:[0,1]
	s_waitcnt vmcnt(1)
	v_pk_mul_f32 v[68:69], v[52:53], v[28:29] op_sel:[0,1]
	v_mov_b32_e32 v40, v31
	v_mov_b32_e32 v35, v72
	v_pk_mul_f32 v[72:73], v[44:45], v[74:75] op_sel:[1,0] op_sel_hi:[0,1]
	v_mov_b32_e32 v79, v41
	v_pk_fma_f32 v[74:75], v[42:43], v[26:27], v[66:67] op_sel:[0,0,1] op_sel_hi:[1,1,0] neg_lo:[0,0,1] neg_hi:[0,0,1]
	v_pk_fma_f32 v[42:43], v[42:43], v[26:27], v[66:67] op_sel:[0,0,1] op_sel_hi:[1,0,0]
	v_pk_mul_f32 v[70:71], v[50:51], v[70:71] op_sel:[1,0] op_sel_hi:[0,1]
	v_mov_b32_e32 v55, v76
	v_pk_fma_f32 v[66:67], v[52:53], v[28:29], v[68:69] op_sel:[0,0,1] op_sel_hi:[1,1,0] neg_lo:[0,0,1] neg_hi:[0,0,1]
	v_pk_fma_f32 v[52:53], v[52:53], v[28:29], v[68:69] op_sel:[0,0,1] op_sel_hi:[1,0,0]
	v_pk_mul_f32 v[40:41], v[36:37], v[40:41] op_sel_hi:[1,0]
	v_mov_b32_e32 v75, v43
	v_pk_add_f32 v[42:43], v[46:47], v[78:79]
	s_waitcnt vmcnt(0)
	v_pk_mul_f32 v[64:65], v[64:65], v[16:17] op_sel_hi:[0,1]
	v_pk_mul_f32 v[62:63], v[62:63], v[18:19] op_sel_hi:[0,1]
	v_pk_fma_f32 v[68:69], v[50:51], v[20:21], v[70:71] neg_lo:[0,0,1] neg_hi:[0,0,1]
	v_pk_fma_f32 v[50:51], v[50:51], v[20:21], v[34:35] op_sel:[1,0,0] op_sel_hi:[0,1,1]
	v_pk_fma_f32 v[70:71], v[44:45], v[22:23], v[72:73] neg_lo:[0,0,1] neg_hi:[0,0,1]
	v_pk_fma_f32 v[44:45], v[44:45], v[22:23], v[54:55] op_sel:[1,0,0] op_sel_hi:[0,1,1]
	v_mov_b32_e32 v67, v53
	v_pk_fma_f32 v[52:53], v[36:37], v[30:31], v[40:41] op_sel:[0,0,1] op_sel_hi:[1,1,0] neg_lo:[0,0,1] neg_hi:[0,0,1]
	v_pk_fma_f32 v[40:41], v[36:37], v[30:31], v[40:41] op_sel:[0,0,1] op_sel_hi:[1,0,0]
	v_pk_add_f32 v[36:37], v[42:43], v[74:75]
	v_pk_add_f32 v[42:43], v[78:79], v[74:75]
	v_pk_add_f32 v[72:73], v[78:79], v[74:75] neg_lo:[0,1] neg_hi:[0,1]
	v_pk_fma_f32 v[74:75], v[34:35], v[16:17], v[64:65] op_sel:[0,0,1] op_sel_hi:[0,1,0]
	v_pk_fma_f32 v[34:35], v[34:35], v[16:17], v[64:65] op_sel:[0,0,1] op_sel_hi:[0,1,0] neg_lo:[0,0,1] neg_hi:[0,0,1]
	v_pk_fma_f32 v[64:65], v[54:55], v[18:19], v[62:63] op_sel:[0,0,1] op_sel_hi:[0,1,0]
	v_pk_fma_f32 v[54:55], v[54:55], v[18:19], v[62:63] op_sel:[0,0,1] op_sel_hi:[0,1,0] neg_lo:[0,0,1] neg_hi:[0,0,1]
	v_mov_b32_e32 v53, v41
	v_mov_b32_e32 v69, v51
	;; [unrolled: 1-line block ×3, first 2 shown]
	v_pk_add_f32 v[40:41], v[38:39], v[66:67]
	v_pk_fma_f32 v[42:43], v[42:43], 0.5, v[46:47] op_sel_hi:[1,0,1] neg_lo:[1,0,0] neg_hi:[1,0,0]
	v_pk_mul_f32 v[44:45], v[72:73], s[10:11] op_sel_hi:[1,0]
	v_mov_b32_e32 v35, v75
	v_mov_b32_e32 v55, v65
	v_pk_add_f32 v[46:47], v[48:49], v[68:69]
	v_pk_add_f32 v[50:51], v[68:69], v[70:71]
	v_pk_add_f32 v[62:63], v[68:69], v[70:71] neg_lo:[0,1] neg_hi:[0,1]
	v_pk_add_f32 v[40:41], v[40:41], v[52:53]
	v_pk_add_f32 v[64:65], v[66:67], v[52:53]
	v_pk_add_f32 v[52:53], v[66:67], v[52:53] neg_lo:[0,1] neg_hi:[0,1]
	v_pk_add_f32 v[66:67], v[42:43], v[44:45] op_sel:[0,1] op_sel_hi:[1,0]
	v_pk_add_f32 v[44:45], v[42:43], v[44:45] op_sel:[0,1] op_sel_hi:[1,0] neg_lo:[0,1] neg_hi:[0,1]
	v_pk_add_f32 v[42:43], v[34:35], v[54:55]
	v_pk_add_f32 v[68:69], v[34:35], v[54:55] neg_lo:[0,1] neg_hi:[0,1]
	v_pk_fma_f32 v[48:49], v[50:51], 0.5, v[48:49] op_sel_hi:[1,0,1] neg_lo:[1,0,0] neg_hi:[1,0,0]
	v_pk_mul_f32 v[50:51], v[62:63], s[10:11] op_sel_hi:[1,0]
	v_pk_fma_f32 v[62:63], v[64:65], 0.5, v[38:39] op_sel_hi:[1,0,1] neg_lo:[1,0,0] neg_hi:[1,0,0]
	v_pk_mul_f32 v[52:53], v[52:53], s[10:11] op_sel_hi:[1,0]
	;; [unrolled: 2-line block ×3, first 2 shown]
	v_pk_add_f32 v[32:33], v[32:33], v[34:35]
	v_pk_add_f32 v[46:47], v[46:47], v[70:71]
	v_pk_add_f32 v[42:43], v[48:49], v[50:51] op_sel:[0,1] op_sel_hi:[1,0]
	v_pk_add_f32 v[50:51], v[48:49], v[50:51] op_sel:[0,1] op_sel_hi:[1,0] neg_lo:[0,1] neg_hi:[0,1]
	v_pk_add_f32 v[70:71], v[62:63], v[52:53] op_sel:[0,1] op_sel_hi:[1,0]
	v_pk_add_f32 v[52:53], v[62:63], v[52:53] op_sel:[0,1] op_sel_hi:[1,0] neg_lo:[0,1] neg_hi:[0,1]
	v_pk_add_f32 v[54:55], v[32:33], v[54:55]
	v_pk_add_f32 v[32:33], v[64:65], v[68:69] op_sel:[0,1] op_sel_hi:[1,0]
	v_pk_add_f32 v[62:63], v[64:65], v[68:69] op_sel:[0,1] op_sel_hi:[1,0] neg_lo:[0,1] neg_hi:[0,1]
	v_mov_b32_e32 v38, v66
	v_mov_b32_e32 v39, v45
	;; [unrolled: 1-line block ×12, first 2 shown]
	ds_write2_b64 v57, v[38:39], v[44:45] offset0:110 offset1:220
	ds_write2_b64 v57, v[36:37], v[46:47] offset1:33
	ds_write_b64 v126, v[48:49] offset:1144
	ds_write_b64 v126, v[50:51] offset:2024
	;; [unrolled: 1-line block ×5, first 2 shown]
	s_and_saveexec_b64 s[10:11], s[0:1]
	s_cbranch_execz .LBB0_11
; %bb.10:
	ds_write2_b64 v57, v[54:55], v[80:81] offset0:99 offset1:209
	ds_write_b64 v57, v[62:63] offset:2552
.LBB0_11:
	s_or_b64 exec, exec, s[10:11]
	s_waitcnt lgkmcnt(0)
	s_barrier
	s_and_saveexec_b64 s[10:11], vcc
	s_cbranch_execz .LBB0_13
; %bb.12:
	global_load_dwordx2 v[82:83], v59, s[2:3] offset:2640
	s_add_u32 s12, s2, 0xa50
	s_addc_u32 s13, s3, 0
	global_load_dwordx2 v[84:85], v59, s[12:13] offset:240
	global_load_dwordx2 v[86:87], v59, s[12:13] offset:480
	;; [unrolled: 1-line block ×10, first 2 shown]
	ds_read2_b64 v[32:35], v57 offset1:30
	ds_read2_b64 v[64:67], v57 offset0:60 offset1:90
	ds_read2_b64 v[68:71], v57 offset0:120 offset1:150
	;; [unrolled: 1-line block ×3, first 2 shown]
	v_add_u32_e32 v108, 0x400, v57
	ds_read_b64 v[104:105], v57 offset:2400
	ds_read2_b64 v[76:79], v108 offset0:112 offset1:142
	s_waitcnt vmcnt(7) lgkmcnt(4)
	v_mul_f32_e32 v109, v67, v89
	s_waitcnt vmcnt(6) lgkmcnt(3)
	v_mul_f32_e32 v110, v69, v91
	s_waitcnt vmcnt(5)
	v_mul_f32_e32 v111, v71, v93
	s_waitcnt vmcnt(4) lgkmcnt(2)
	v_mul_f32_e32 v112, v73, v95
	v_mul_f32_e32 v106, v33, v83
	;; [unrolled: 1-line block ×3, first 2 shown]
	v_fma_f32 v106, v32, v82, -v106
	v_fmac_f32_e32 v107, v33, v82
	v_mul_f32_e32 v32, v35, v85
	v_mul_f32_e32 v33, v34, v85
	;; [unrolled: 1-line block ×8, first 2 shown]
	s_waitcnt vmcnt(3)
	v_mul_f32_e32 v113, v75, v97
	v_mul_f32_e32 v93, v74, v97
	s_waitcnt vmcnt(2) lgkmcnt(0)
	v_mul_f32_e32 v114, v77, v99
	v_mul_f32_e32 v95, v76, v99
	s_waitcnt vmcnt(1)
	v_mul_f32_e32 v115, v79, v101
	v_mul_f32_e32 v97, v78, v101
	s_waitcnt vmcnt(0)
	v_mul_f32_e32 v101, v105, v103
	v_mul_f32_e32 v99, v104, v103
	v_fma_f32 v32, v34, v84, -v32
	v_fmac_f32_e32 v33, v35, v84
	v_fma_f32 v82, v64, v86, -v82
	v_fmac_f32_e32 v83, v65, v86
	;; [unrolled: 2-line block ×10, first 2 shown]
	ds_write2_b64 v57, v[106:107], v[32:33] offset1:30
	ds_write2_b64 v57, v[82:83], v[84:85] offset0:60 offset1:90
	ds_write2_b64 v57, v[86:87], v[88:89] offset0:120 offset1:150
	;; [unrolled: 1-line block ×4, first 2 shown]
	ds_write_b64 v57, v[98:99] offset:2400
.LBB0_13:
	s_or_b64 exec, exec, s[10:11]
	s_waitcnt lgkmcnt(0)
	s_barrier
	s_and_saveexec_b64 s[10:11], vcc
	s_cbranch_execz .LBB0_15
; %bb.14:
	ds_read2_b64 v[36:39], v57 offset1:30
	ds_read2_b64 v[44:47], v57 offset0:60 offset1:90
	ds_read2_b64 v[48:51], v57 offset0:120 offset1:150
	;; [unrolled: 1-line block ×3, first 2 shown]
	v_add_u32_e32 v32, 0x400, v57
	ds_read2_b64 v[52:55], v32 offset0:112 offset1:142
	ds_read_b64 v[80:81], v57 offset:2400
.LBB0_15:
	s_or_b64 exec, exec, s[10:11]
	s_waitcnt lgkmcnt(0)
	v_pk_add_f32 v[34:35], v[38:39], v[80:81] neg_lo:[0,1] neg_hi:[0,1]
	v_pk_add_f32 v[100:101], v[38:39], v[80:81]
	v_mov_b32_e32 v83, v34
	v_mov_b32_e32 v82, v100
	v_mov_b32_e32 v100, v35
	v_pk_add_f32 v[34:35], v[44:45], v[54:55] neg_lo:[0,1] neg_hi:[0,1]
	v_pk_add_f32 v[98:99], v[44:45], v[54:55]
	v_mov_b32_e32 v85, v34
	v_mov_b32_e32 v84, v98
	;; [unrolled: 1-line block ×3, first 2 shown]
	v_pk_add_f32 v[34:35], v[46:47], v[52:53] neg_lo:[0,1] neg_hi:[0,1]
	v_pk_add_f32 v[96:97], v[46:47], v[52:53]
	s_mov_b32 s28, 0xbf0a6770
	v_mov_b32_e32 v86, v96
	v_mov_b32_e32 v87, v34
	;; [unrolled: 1-line block ×3, first 2 shown]
	v_pk_add_f32 v[34:35], v[48:49], v[42:43] neg_lo:[0,1] neg_hi:[0,1]
	v_pk_add_f32 v[94:95], v[48:49], v[42:43]
	s_mov_b32 s29, 0x3f575c64
	v_mov_b32_e32 v88, v94
	v_mov_b32_e32 v89, v34
	;; [unrolled: 1-line block ×3, first 2 shown]
	v_pk_add_f32 v[34:35], v[50:51], v[40:41] neg_lo:[0,1] neg_hi:[0,1]
	v_pk_add_f32 v[92:93], v[50:51], v[40:41]
	v_pk_mul_f32 v[102:103], v[100:101], s[28:29]
	s_mov_b32 s10, s29
	s_mov_b32 s11, s28
	;; [unrolled: 1-line block ×4, first 2 shown]
	v_mov_b32_e32 v90, v92
	v_mov_b32_e32 v91, v34
	;; [unrolled: 1-line block ×3, first 2 shown]
	v_pk_fma_f32 v[34:35], v[82:83], s[10:11], v[102:103] neg_lo:[0,0,1] neg_hi:[0,0,1]
	v_pk_fma_f32 v[104:105], v[82:83], s[10:11], v[102:103]
	v_pk_mul_f32 v[106:107], v[98:99], s[22:23]
	s_mov_b32 s12, s23
	s_mov_b32 s13, s22
	v_mov_b32_e32 v35, v105
	v_pk_fma_f32 v[110:111], v[84:85], s[12:13], v[106:107] neg_lo:[0,0,1] neg_hi:[0,0,1]
	v_pk_fma_f32 v[108:109], v[84:85], s[12:13], v[106:107]
	s_mov_b32 s24, 0xbf7d64f0
	v_pk_add_f32 v[34:35], v[36:37], v[34:35]
	v_mov_b32_e32 v111, v109
	s_mov_b32 s25, 0xbe11bafb
	v_pk_add_f32 v[34:35], v[110:111], v[34:35]
	v_pk_mul_f32 v[110:111], v[96:97], s[24:25]
	s_mov_b32 s18, s25
	s_mov_b32 s19, s24
	v_pk_fma_f32 v[114:115], v[86:87], s[18:19], v[110:111] neg_lo:[0,0,1] neg_hi:[0,0,1]
	v_pk_fma_f32 v[112:113], v[86:87], s[18:19], v[110:111]
	s_mov_b32 s34, 0xbf4178ce
	v_mov_b32_e32 v115, v113
	s_mov_b32 s35, 0xbf27a4f4
	v_pk_add_f32 v[34:35], v[114:115], v[34:35]
	v_pk_mul_f32 v[114:115], v[94:95], s[34:35]
	s_mov_b32 s16, s35
	s_mov_b32 s17, s34
	v_pk_fma_f32 v[118:119], v[88:89], s[16:17], v[114:115] neg_lo:[0,0,1] neg_hi:[0,0,1]
	v_pk_fma_f32 v[116:117], v[88:89], s[16:17], v[114:115]
	s_mov_b32 s38, 0xbe903f40
	v_mov_b32_e32 v119, v117
	s_mov_b32 s39, 0xbf75a155
	v_pk_add_f32 v[34:35], v[118:119], v[34:35]
	v_pk_mul_f32 v[118:119], v[92:93], s[38:39]
	s_mov_b32 s20, s39
	s_mov_b32 s21, s38
	v_pk_fma_f32 v[128:129], v[90:91], s[20:21], v[118:119] neg_lo:[0,0,1] neg_hi:[0,0,1]
	v_pk_fma_f32 v[120:121], v[90:91], s[20:21], v[118:119]
	v_mov_b32_e32 v78, v14
	v_mov_b32_e32 v129, v121
	;; [unrolled: 1-line block ×28, first 2 shown]
	v_pk_add_f32 v[34:35], v[128:129], v[34:35]
	s_barrier
	s_and_saveexec_b64 s[14:15], vcc
	s_cbranch_execz .LBB0_17
; %bb.16:
	v_pk_add_f32 v[38:39], v[38:39], v[36:37]
	v_pk_mul_f32 v[128:129], v[82:83], s[10:11]
	v_pk_add_f32 v[38:39], v[44:45], v[38:39]
	v_pk_mul_f32 v[130:131], v[84:85], s[12:13]
	v_pk_add_f32 v[38:39], v[46:47], v[38:39]
	v_mul_lo_u16_e32 v105, 11, v56
	v_pk_add_f32 v[38:39], v[48:49], v[38:39]
	v_pk_mul_f32 v[132:133], v[86:87], s[18:19]
	v_pk_add_f32 v[38:39], v[50:51], v[38:39]
	v_lshl_add_u32 v123, v105, 3, v123
	v_pk_add_f32 v[38:39], v[40:41], v[38:39]
	v_pk_add_f32 v[40:41], v[102:103], v[128:129] neg_lo:[0,1] neg_hi:[0,1]
	v_pk_add_f32 v[38:39], v[42:43], v[38:39]
	v_mov_b32_e32 v105, v41
	v_pk_add_f32 v[42:43], v[106:107], v[130:131] neg_lo:[0,1] neg_hi:[0,1]
	v_pk_mul_f32 v[134:135], v[88:89], s[16:17]
	v_pk_add_f32 v[40:41], v[36:37], v[104:105]
	v_mov_b32_e32 v109, v43
	v_pk_add_f32 v[42:43], v[110:111], v[132:133] neg_lo:[0,1] neg_hi:[0,1]
	v_pk_mul_f32 v[136:137], v[90:91], s[20:21]
	v_pk_add_f32 v[40:41], v[108:109], v[40:41]
	v_mov_b32_e32 v113, v43
	v_pk_add_f32 v[42:43], v[114:115], v[134:135] neg_lo:[0,1] neg_hi:[0,1]
	v_pk_add_f32 v[38:39], v[52:53], v[38:39]
	v_pk_add_f32 v[40:41], v[112:113], v[40:41]
	v_mov_b32_e32 v117, v43
	v_pk_add_f32 v[42:43], v[118:119], v[136:137] neg_lo:[0,1] neg_hi:[0,1]
	v_pk_add_f32 v[38:39], v[54:55], v[38:39]
	v_pk_add_f32 v[40:41], v[116:117], v[40:41]
	v_mov_b32_e32 v121, v43
	v_pk_add_f32 v[38:39], v[80:81], v[38:39]
	v_pk_add_f32 v[40:41], v[120:121], v[40:41]
	ds_write2_b64 v123, v[38:39], v[40:41] offset1:1
	v_pk_mul_f32 v[38:39], v[100:101], s[22:23]
	v_pk_mul_f32 v[44:45], v[98:99], s[34:35]
	v_pk_fma_f32 v[40:41], v[82:83], s[12:13], v[38:39]
	v_pk_fma_f32 v[42:43], v[82:83], s[12:13], v[38:39] neg_lo:[1,0,0] neg_hi:[1,0,0]
	v_pk_fma_f32 v[46:47], v[84:85], s[16:17], v[44:45]
	v_mov_b32_e32 v42, v40
	v_pk_fma_f32 v[48:49], v[84:85], s[16:17], v[44:45] neg_lo:[1,0,0] neg_hi:[1,0,0]
	s_mov_b32 s27, 0x3e903f40
	v_pk_add_f32 v[42:43], v[36:37], v[42:43]
	v_mov_b32_e32 v48, v46
	s_mov_b32 s40, s27
	s_mov_b32 s41, s39
	v_pk_add_f32 v[42:43], v[48:49], v[42:43]
	s_mov_b32 s26, s39
	v_pk_mul_f32 v[48:49], v[96:97], s[40:41]
	s_mov_b32 s31, 0x3f7d64f0
	v_pk_fma_f32 v[50:51], v[86:87], s[26:27], v[48:49]
	v_pk_fma_f32 v[52:53], v[86:87], s[26:27], v[48:49] neg_lo:[1,0,0] neg_hi:[1,0,0]
	s_mov_b32 s42, s31
	v_mov_b32_e32 v52, v50
	s_mov_b32 s43, s25
	v_pk_add_f32 v[42:43], v[52:53], v[42:43]
	s_mov_b32 s30, s25
	v_pk_mul_f32 v[52:53], v[94:95], s[42:43]
	s_mov_b32 s37, 0x3f0a6770
	v_pk_fma_f32 v[54:55], v[88:89], s[30:31], v[52:53]
	v_pk_fma_f32 v[80:81], v[88:89], s[30:31], v[52:53] neg_lo:[1,0,0] neg_hi:[1,0,0]
	s_mov_b32 s44, s37
	v_mov_b32_e32 v80, v54
	s_mov_b32 s45, s29
	v_pk_add_f32 v[42:43], v[80:81], v[42:43]
	s_mov_b32 s36, s29
	v_pk_mul_f32 v[80:81], v[92:93], s[44:45]
	v_pk_mul_f32 v[110:111], v[98:99], s[40:41]
	v_pk_fma_f32 v[102:103], v[90:91], s[36:37], v[80:81]
	v_pk_fma_f32 v[104:105], v[90:91], s[36:37], v[80:81] neg_lo:[1,0,0] neg_hi:[1,0,0]
	v_pk_fma_f32 v[112:113], v[84:85], s[26:27], v[110:111]
	v_mov_b32_e32 v104, v102
	v_pk_add_f32 v[42:43], v[104:105], v[42:43]
	v_pk_mul_f32 v[104:105], v[100:101], s[24:25]
	v_pk_fma_f32 v[114:115], v[84:85], s[26:27], v[110:111] neg_lo:[1,0,0] neg_hi:[1,0,0]
	v_pk_fma_f32 v[106:107], v[82:83], s[18:19], v[104:105]
	v_pk_fma_f32 v[108:109], v[82:83], s[18:19], v[104:105] neg_lo:[1,0,0] neg_hi:[1,0,0]
	s_mov_b32 s41, 0x3f68dda4
	v_mov_b32_e32 v108, v106
	v_pk_add_f32 v[108:109], v[36:37], v[108:109]
	v_mov_b32_e32 v114, v112
	s_mov_b32 s22, s41
	v_pk_add_f32 v[108:109], v[114:115], v[108:109]
	s_mov_b32 s40, s23
	v_pk_mul_f32 v[114:115], v[96:97], s[22:23]
	v_pk_mul_f32 v[134:135], v[98:99], s[42:43]
	v_pk_fma_f32 v[116:117], v[86:87], s[40:41], v[114:115]
	v_pk_fma_f32 v[118:119], v[86:87], s[40:41], v[114:115] neg_lo:[1,0,0] neg_hi:[1,0,0]
	v_pk_fma_f32 v[136:137], v[84:85], s[30:31], v[134:135]
	v_mov_b32_e32 v118, v116
	v_pk_add_f32 v[108:109], v[118:119], v[108:109]
	v_pk_mul_f32 v[118:119], v[94:95], s[28:29]
	v_pk_fma_f32 v[138:139], v[84:85], s[30:31], v[134:135] neg_lo:[1,0,0] neg_hi:[1,0,0]
	v_pk_fma_f32 v[120:121], v[88:89], s[10:11], v[118:119]
	v_pk_fma_f32 v[128:129], v[88:89], s[10:11], v[118:119] neg_lo:[1,0,0] neg_hi:[1,0,0]
	v_mov_b32_e32 v138, v136
	v_mov_b32_e32 v128, v120
	v_pk_add_f32 v[108:109], v[128:129], v[108:109]
	v_pk_mul_f32 v[128:129], v[92:93], s[34:35]
	v_pk_mul_f32 v[98:99], v[98:99], s[44:45]
	v_pk_fma_f32 v[130:131], v[90:91], s[16:17], v[128:129]
	v_pk_fma_f32 v[132:133], v[90:91], s[16:17], v[128:129] neg_lo:[1,0,0] neg_hi:[1,0,0]
	v_pk_fma_f32 v[154:155], v[84:85], s[36:37], v[98:99]
	v_mov_b32_e32 v132, v130
	v_pk_add_f32 v[108:109], v[132:133], v[108:109]
	ds_write2_b64 v123, v[42:43], v[108:109] offset0:2 offset1:3
	v_pk_mul_f32 v[42:43], v[100:101], s[34:35]
	v_pk_mul_f32 v[100:101], v[100:101], s[38:39]
	v_pk_fma_f32 v[108:109], v[82:83], s[16:17], v[42:43]
	v_pk_fma_f32 v[132:133], v[82:83], s[16:17], v[42:43] neg_lo:[1,0,0] neg_hi:[1,0,0]
	v_pk_fma_f32 v[152:153], v[82:83], s[20:21], v[100:101] neg_lo:[1,0,0] neg_hi:[1,0,0]
	v_mov_b32_e32 v132, v108
	v_pk_add_f32 v[132:133], v[36:37], v[132:133]
	v_pk_fma_f32 v[156:157], v[84:85], s[36:37], v[98:99] neg_lo:[1,0,0] neg_hi:[1,0,0]
	v_pk_add_f32 v[132:133], v[138:139], v[132:133]
	v_pk_mul_f32 v[138:139], v[96:97], s[28:29]
	v_mov_b32_e32 v156, v154
	v_pk_fma_f32 v[140:141], v[86:87], s[10:11], v[138:139]
	v_pk_fma_f32 v[142:143], v[86:87], s[10:11], v[138:139] neg_lo:[1,0,0] neg_hi:[1,0,0]
	v_pk_mul_f32 v[96:97], v[96:97], s[34:35]
	v_mov_b32_e32 v142, v140
	v_pk_add_f32 v[132:133], v[142:143], v[132:133]
	v_pk_mul_f32 v[142:143], v[94:95], s[38:39]
	v_pk_fma_f32 v[158:159], v[86:87], s[16:17], v[96:97] neg_lo:[1,0,0] neg_hi:[1,0,0]
	v_pk_fma_f32 v[144:145], v[88:89], s[20:21], v[142:143]
	v_pk_fma_f32 v[146:147], v[88:89], s[20:21], v[142:143] neg_lo:[1,0,0] neg_hi:[1,0,0]
	v_pk_mul_f32 v[94:95], v[94:95], s[22:23]
	v_mov_b32_e32 v146, v144
	v_pk_add_f32 v[132:133], v[146:147], v[132:133]
	v_pk_mul_f32 v[146:147], v[92:93], s[22:23]
	v_pk_fma_f32 v[98:99], v[84:85], s[36:37], v[98:99] neg_lo:[0,0,1] neg_hi:[0,0,1]
	v_pk_fma_f32 v[148:149], v[90:91], s[40:41], v[146:147]
	v_pk_fma_f32 v[150:151], v[90:91], s[40:41], v[146:147] neg_lo:[1,0,0] neg_hi:[1,0,0]
	v_pk_fma_f32 v[160:161], v[88:89], s[40:41], v[94:95] neg_lo:[1,0,0] neg_hi:[1,0,0]
	v_mov_b32_e32 v150, v148
	v_pk_add_f32 v[132:133], v[150:151], v[132:133]
	v_pk_fma_f32 v[150:151], v[82:83], s[20:21], v[100:101]
	v_pk_fma_f32 v[100:101], v[82:83], s[20:21], v[100:101] neg_lo:[0,0,1] neg_hi:[0,0,1]
	v_mov_b32_e32 v152, v150
	v_pk_add_f32 v[152:153], v[36:37], v[152:153]
	v_mov_b32_e32 v101, v151
	v_pk_add_f32 v[152:153], v[156:157], v[152:153]
	v_pk_fma_f32 v[156:157], v[86:87], s[16:17], v[96:97]
	v_pk_add_f32 v[100:101], v[36:37], v[100:101]
	v_mov_b32_e32 v158, v156
	v_pk_add_f32 v[152:153], v[158:159], v[152:153]
	v_pk_fma_f32 v[158:159], v[88:89], s[40:41], v[94:95]
	v_mov_b32_e32 v99, v155
	v_pk_fma_f32 v[96:97], v[86:87], s[16:17], v[96:97] neg_lo:[0,0,1] neg_hi:[0,0,1]
	v_mov_b32_e32 v160, v158
	v_pk_mul_f32 v[92:93], v[92:93], s[24:25]
	v_pk_add_f32 v[98:99], v[98:99], v[100:101]
	v_mov_b32_e32 v97, v157
	v_pk_fma_f32 v[94:95], v[88:89], s[40:41], v[94:95] neg_lo:[0,0,1] neg_hi:[0,0,1]
	v_pk_add_f32 v[152:153], v[160:161], v[152:153]
	v_pk_fma_f32 v[160:161], v[90:91], s[18:19], v[92:93]
	v_pk_fma_f32 v[162:163], v[90:91], s[18:19], v[92:93] neg_lo:[1,0,0] neg_hi:[1,0,0]
	v_pk_add_f32 v[96:97], v[96:97], v[98:99]
	v_mov_b32_e32 v95, v159
	v_pk_fma_f32 v[92:93], v[90:91], s[18:19], v[92:93] neg_lo:[0,0,1] neg_hi:[0,0,1]
	v_pk_add_f32 v[94:95], v[94:95], v[96:97]
	v_mov_b32_e32 v93, v161
	;; [unrolled: 3-line block ×4, first 2 shown]
	v_pk_add_f32 v[42:43], v[94:95], v[42:43]
	v_pk_fma_f32 v[94:95], v[86:87], s[10:11], v[138:139] neg_lo:[0,0,1] neg_hi:[0,0,1]
	v_pk_fma_f32 v[38:39], v[82:83], s[12:13], v[38:39] neg_lo:[0,0,1] neg_hi:[0,0,1]
	v_mov_b32_e32 v95, v141
	v_pk_add_f32 v[42:43], v[94:95], v[42:43]
	v_pk_fma_f32 v[94:95], v[88:89], s[20:21], v[142:143] neg_lo:[0,0,1] neg_hi:[0,0,1]
	v_mov_b32_e32 v39, v41
	v_mov_b32_e32 v95, v145
	v_pk_add_f32 v[42:43], v[94:95], v[42:43]
	v_pk_fma_f32 v[94:95], v[90:91], s[40:41], v[146:147] neg_lo:[0,0,1] neg_hi:[0,0,1]
	v_mov_b32_e32 v162, v160
	v_mov_b32_e32 v95, v149
	v_pk_add_f32 v[42:43], v[94:95], v[42:43]
	ds_write2_b64 v123, v[92:93], v[42:43] offset0:6 offset1:7
	v_pk_fma_f32 v[42:43], v[82:83], s[18:19], v[104:105] neg_lo:[0,0,1] neg_hi:[0,0,1]
	v_pk_fma_f32 v[92:93], v[84:85], s[26:27], v[110:111] neg_lo:[0,0,1] neg_hi:[0,0,1]
	v_mov_b32_e32 v43, v107
	v_pk_add_f32 v[42:43], v[36:37], v[42:43]
	v_pk_add_f32 v[36:37], v[36:37], v[38:39]
	v_pk_fma_f32 v[38:39], v[84:85], s[16:17], v[44:45] neg_lo:[0,0,1] neg_hi:[0,0,1]
	v_mov_b32_e32 v93, v113
	v_mov_b32_e32 v39, v47
	v_pk_add_f32 v[42:43], v[92:93], v[42:43]
	v_pk_fma_f32 v[92:93], v[86:87], s[40:41], v[114:115] neg_lo:[0,0,1] neg_hi:[0,0,1]
	v_pk_add_f32 v[36:37], v[38:39], v[36:37]
	v_pk_fma_f32 v[38:39], v[86:87], s[26:27], v[48:49] neg_lo:[0,0,1] neg_hi:[0,0,1]
	v_mov_b32_e32 v93, v117
	v_mov_b32_e32 v39, v51
	v_pk_add_f32 v[42:43], v[92:93], v[42:43]
	v_pk_fma_f32 v[92:93], v[88:89], s[10:11], v[118:119] neg_lo:[0,0,1] neg_hi:[0,0,1]
	;; [unrolled: 6-line block ×3, first 2 shown]
	v_pk_add_f32 v[36:37], v[38:39], v[36:37]
	v_pk_fma_f32 v[38:39], v[90:91], s[36:37], v[80:81] neg_lo:[0,0,1] neg_hi:[0,0,1]
	v_mov_b32_e32 v93, v131
	v_mov_b32_e32 v39, v103
	v_pk_add_f32 v[152:153], v[162:163], v[152:153]
	v_pk_add_f32 v[42:43], v[92:93], v[42:43]
	v_pk_add_f32 v[36:37], v[38:39], v[36:37]
	ds_write2_b64 v123, v[132:133], v[152:153] offset0:4 offset1:5
	ds_write2_b64 v123, v[42:43], v[36:37] offset0:8 offset1:9
	ds_write_b64 v123, v[34:35] offset:80
.LBB0_17:
	s_or_b64 exec, exec, s[14:15]
	s_waitcnt lgkmcnt(0)
	s_barrier
	ds_read2_b64 v[44:47], v124 offset1:33
	ds_read2_b64 v[48:51], v124 offset0:66 offset1:99
	ds_read2_b64 v[52:55], v124 offset0:132 offset1:165
	;; [unrolled: 1-line block ×3, first 2 shown]
	v_add_u32_e32 v37, 0x800, v124
	ds_read2_b64 v[84:87], v37 offset0:8 offset1:41
	s_waitcnt lgkmcnt(3)
	v_pk_mul_f32 v[14:15], v[14:15], v[48:49]
	s_waitcnt lgkmcnt(2)
	v_pk_mul_f32 v[10:11], v[10:11], v[52:53]
	v_pk_fma_f32 v[88:89], v[78:79], v[48:49], v[14:15] op_sel:[0,0,1] op_sel_hi:[1,1,0]
	v_pk_fma_f32 v[14:15], v[78:79], v[48:49], v[14:15] op_sel:[0,0,1] op_sel_hi:[1,1,0] neg_lo:[0,0,1] neg_hi:[0,0,1]
	s_waitcnt lgkmcnt(1)
	v_pk_mul_f32 v[6:7], v[6:7], v[80:81]
	v_mov_b32_e32 v89, v15
	v_pk_fma_f32 v[14:15], v[76:77], v[52:53], v[10:11] op_sel:[0,0,1] op_sel_hi:[1,1,0]
	v_pk_fma_f32 v[10:11], v[76:77], v[52:53], v[10:11] op_sel:[0,0,1] op_sel_hi:[1,1,0] neg_lo:[0,0,1] neg_hi:[0,0,1]
	s_waitcnt lgkmcnt(0)
	v_pk_mul_f32 v[2:3], v[2:3], v[84:85]
	v_mov_b32_e32 v15, v11
	v_pk_fma_f32 v[10:11], v[74:75], v[80:81], v[6:7] op_sel:[0,0,1] op_sel_hi:[1,1,0]
	v_pk_fma_f32 v[6:7], v[74:75], v[80:81], v[6:7] op_sel:[0,0,1] op_sel_hi:[1,1,0] neg_lo:[0,0,1] neg_hi:[0,0,1]
	v_pk_mul_f32 v[12:13], v[12:13], v[46:47]
	v_mov_b32_e32 v11, v7
	v_pk_fma_f32 v[6:7], v[72:73], v[84:85], v[2:3] op_sel:[0,0,1] op_sel_hi:[1,1,0]
	v_pk_fma_f32 v[2:3], v[72:73], v[84:85], v[2:3] op_sel:[0,0,1] op_sel_hi:[1,1,0] neg_lo:[0,0,1] neg_hi:[0,0,1]
	v_pk_mul_f32 v[8:9], v[8:9], v[50:51]
	v_pk_mul_f32 v[4:5], v[4:5], v[54:55]
	;; [unrolled: 1-line block ×4, first 2 shown]
	v_mov_b32_e32 v7, v3
	v_pk_add_f32 v[2:3], v[14:15], v[10:11]
	v_pk_fma_f32 v[78:79], v[70:71], v[46:47], v[12:13] op_sel:[0,0,1] op_sel_hi:[1,1,0]
	v_pk_fma_f32 v[12:13], v[70:71], v[46:47], v[12:13] op_sel:[0,0,1] op_sel_hi:[1,1,0] neg_lo:[0,0,1] neg_hi:[0,0,1]
	v_pk_fma_f32 v[46:47], v[68:69], v[50:51], v[8:9] op_sel:[0,0,1] op_sel_hi:[1,1,0]
	v_pk_fma_f32 v[8:9], v[68:69], v[50:51], v[8:9] op_sel:[0,0,1] op_sel_hi:[1,1,0] neg_lo:[0,0,1] neg_hi:[0,0,1]
	;; [unrolled: 2-line block ×4, first 2 shown]
	v_pk_fma_f32 v[64:65], v[32:33], v[86:87], v[60:61] op_sel:[0,0,1] op_sel_hi:[1,1,0]
	v_pk_fma_f32 v[2:3], v[2:3], 0.5, v[44:45] op_sel_hi:[1,0,1] neg_lo:[1,0,0] neg_hi:[1,0,0]
	v_pk_add_f32 v[48:49], v[88:89], v[6:7] neg_lo:[0,1] neg_hi:[0,1]
	s_mov_b32 s10, 0x3f737871
	s_mov_b32 s14, 0x3f167918
	v_pk_add_f32 v[72:73], v[88:89], v[14:15] neg_lo:[0,1] neg_hi:[0,1]
	v_pk_add_f32 v[74:75], v[6:7], v[10:11] neg_lo:[0,1] neg_hi:[0,1]
	v_mov_b32_e32 v70, v46
	v_mov_b32_e32 v71, v64
	;; [unrolled: 1-line block ×4, first 2 shown]
	v_pk_add_f32 v[52:53], v[14:15], v[10:11] neg_lo:[0,1] neg_hi:[0,1]
	s_mov_b32 s15, 0x3f4f1bbd
	v_pk_add_f32 v[72:73], v[72:73], v[74:75]
	v_pk_fma_f32 v[74:75], v[48:49], s[10:11], v[2:3] op_sel:[1,0,0] op_sel_hi:[0,0,1]
	v_pk_fma_f32 v[2:3], v[48:49], s[10:11], v[2:3] op_sel:[1,0,0] op_sel_hi:[0,0,1] neg_lo:[1,0,0] neg_hi:[1,0,0]
	v_pk_add_f32 v[82:83], v[70:71], v[80:81] neg_lo:[0,1] neg_hi:[0,1]
	v_pk_fma_f32 v[2:3], v[52:53], s[14:15], v[2:3] op_sel:[1,0,0] op_sel_hi:[0,0,1] neg_lo:[1,0,0] neg_hi:[1,0,0]
	v_pk_fma_f32 v[74:75], v[52:53], s[14:15], v[74:75] op_sel:[1,0,0] op_sel_hi:[0,0,1]
	v_mov_b32_e32 v51, v5
	v_mov_b32_e32 v55, v1
	v_pk_fma_f32 v[32:33], v[32:33], v[86:87], v[60:61] op_sel:[0,0,1] op_sel_hi:[1,1,0] neg_lo:[0,0,1] neg_hi:[0,0,1]
	v_mov_b32_e32 v0, v83
	s_mov_b32 s12, 0x3e9e377a
	v_mov_b32_e32 v76, v74
	v_mov_b32_e32 v77, v3
	;; [unrolled: 1-line block ×4, first 2 shown]
	v_pk_add_f32 v[60:61], v[50:51], v[54:55]
	v_pk_add_f32 v[68:69], v[50:51], v[54:55] neg_lo:[0,1] neg_hi:[0,1]
	v_pk_add_f32 v[82:83], v[82:83], v[0:1]
	v_pk_fma_f32 v[76:77], v[72:73], s[12:13], v[76:77] op_sel_hi:[1,0,1]
	v_fma_f32 v3, -0.5, v60, v78
	v_pk_add_f32 v[66:67], v[46:47], v[64:65] neg_lo:[0,1] neg_hi:[0,1]
	v_mov_b32_e32 v83, v69
	s_mov_b32 s13, s14
	v_fmamk_f32 v4, v67, 0xbf737871, v3
	v_pk_mul_f32 v[82:83], v[82:83], s[12:13]
	v_fmac_f32_e32 v3, 0x3f737871, v67
	v_sub_f32_e32 v0, v4, v83
	v_add_f32_e32 v4, v82, v0
	v_add_f32_e32 v0, v83, v3
	v_pk_add_f32 v[70:71], v[80:81], v[70:71] neg_lo:[0,1] neg_hi:[0,1]
	v_add_f32_e32 v8, v82, v0
	v_mov_b32_e32 v0, v71
	v_pk_add_f32 v[82:83], v[46:47], v[64:65]
	v_mov_b32_e32 v3, v78
	v_pk_add_f32 v[70:71], v[70:71], v[0:1]
	v_fmac_f32_e32 v3, -0.5, v82
	v_mov_b32_e32 v71, v67
	v_fmamk_f32 v12, v69, 0x3f737871, v3
	v_pk_mul_f32 v[70:71], v[70:71], s[12:13]
	v_fmac_f32_e32 v3, 0xbf737871, v69
	v_sub_f32_e32 v0, v12, v71
	v_mov_b32_e32 v79, v13
	v_add_f32_e32 v12, v70, v0
	v_add_f32_e32 v0, v71, v3
	v_add_f32_e32 v60, v70, v0
	v_pk_add_f32 v[46:47], v[78:79], v[46:47]
	v_mov_b32_e32 v32, v9
	v_mov_b32_e32 v0, v5
	v_pk_add_f32 v[46:47], v[46:47], v[50:51]
	v_pk_add_f32 v[50:51], v[32:33], v[0:1] neg_lo:[0,1] neg_hi:[0,1]
	v_pk_add_f32 v[46:47], v[46:47], v[54:55]
	v_mov_b32_e32 v54, v51
	v_pk_add_f32 v[50:51], v[50:51], v[54:55]
	v_pk_add_f32 v[0:1], v[0:1], v[32:33] neg_lo:[0,1] neg_hi:[0,1]
	v_fma_f32 v3, -0.5, v61, v13
	v_mov_b32_e32 v51, v68
	v_mov_b32_e32 v32, v1
	v_fmamk_f32 v37, v66, 0x3f737871, v3
	v_pk_mul_f32 v[50:51], v[50:51], s[12:13]
	v_fmac_f32_e32 v3, 0xbf737871, v66
	v_pk_add_f32 v[0:1], v[0:1], v[32:33]
	v_pk_add_f32 v[32:33], v[44:45], v[88:89]
	v_add_f32_e32 v5, v51, v37
	v_sub_f32_e32 v3, v3, v51
	v_pk_add_f32 v[32:33], v[32:33], v[14:15]
	v_add_f32_e32 v54, v50, v5
	v_add_f32_e32 v50, v50, v3
	v_fmac_f32_e32 v13, -0.5, v83
	v_mov_b32_e32 v1, v66
	v_pk_add_f32 v[32:33], v[32:33], v[10:11]
	v_fmamk_f32 v3, v68, 0xbf737871, v13
	v_pk_mul_f32 v[0:1], v[0:1], s[12:13]
	v_pk_add_f32 v[66:67], v[32:33], v[6:7]
	s_mov_b32 s16, 0xbf4f1bbd
	s_mov_b32 s17, s14
	v_pk_mul_f32 v[32:33], v[50:51], s[14:15] op_sel_hi:[0,1]
	v_add_f32_e32 v3, v1, v3
	v_pk_fma_f32 v[8:9], v[8:9], s[16:17], v[32:33] op_sel_hi:[0,1,1] neg_lo:[0,0,1] neg_hi:[0,0,1]
	s_mov_b32 s16, s15
	v_pk_mul_f32 v[54:55], v[54:55], s[14:15] op_sel_hi:[0,1]
	v_pk_add_f32 v[46:47], v[46:47], v[64:65]
	v_add_f32_e32 v64, v0, v3
	v_fmac_f32_e32 v13, 0x3f737871, v68
	v_mov_b32_e32 v3, v75
	v_pk_fma_f32 v[68:69], v[4:5], s[16:17], v[54:55] neg_lo:[0,0,1] neg_hi:[0,0,1]
	v_pk_fma_f32 v[4:5], v[4:5], s[16:17], v[54:55] op_sel_hi:[0,1,1]
	v_pk_fma_f32 v[2:3], v[72:73], s[12:13], v[2:3] op_sel_hi:[1,0,1]
	v_mov_b32_e32 v69, v5
	v_pk_add_f32 v[50:51], v[66:67], v[46:47]
	v_pk_add_f32 v[4:5], v[2:3], v[68:69]
	s_barrier
	ds_write2_b64 v125, v[50:51], v[4:5] offset1:11
	v_pk_add_f32 v[4:5], v[88:89], v[6:7]
	v_pk_add_f32 v[6:7], v[10:11], v[6:7] neg_lo:[0,1] neg_hi:[0,1]
	v_pk_fma_f32 v[4:5], v[4:5], 0.5, v[44:45] op_sel_hi:[1,0,1] neg_lo:[1,0,0] neg_hi:[1,0,0]
	v_pk_add_f32 v[14:15], v[14:15], v[88:89] neg_lo:[0,1] neg_hi:[0,1]
	v_pk_fma_f32 v[10:11], v[52:53], s[10:11], v[4:5] op_sel:[1,0,0] op_sel_hi:[0,0,1]
	v_pk_fma_f32 v[4:5], v[52:53], s[10:11], v[4:5] op_sel:[1,0,0] op_sel_hi:[0,0,1] neg_lo:[1,0,0] neg_hi:[1,0,0]
	v_pk_fma_f32 v[4:5], v[48:49], s[14:15], v[4:5] op_sel:[1,0,0] op_sel_hi:[0,0,1]
	v_pk_fma_f32 v[10:11], v[48:49], s[14:15], v[10:11] op_sel:[1,0,0] op_sel_hi:[0,0,1] neg_lo:[1,0,0] neg_hi:[1,0,0]
	v_sub_f32_e32 v1, v13, v1
	v_pk_add_f32 v[6:7], v[14:15], v[6:7]
	v_mov_b32_e32 v14, v10
	v_mov_b32_e32 v15, v5
	s_mov_b32 s11, s12
	v_add_f32_e32 v0, v0, v1
	v_pk_fma_f32 v[14:15], v[6:7], s[12:13], v[14:15] op_sel_hi:[1,0,1]
	s_mov_b32 s13, s10
	v_pk_mul_f32 v[44:45], v[64:65], s[10:11] op_sel_hi:[0,1]
	v_pk_fma_f32 v[48:49], v[12:13], s[12:13], v[44:45] neg_lo:[0,0,1] neg_hi:[0,0,1]
	v_pk_fma_f32 v[12:13], v[12:13], s[12:13], v[44:45] op_sel_hi:[0,1,1]
	s_mov_b32 s14, 0xbe9e377a
	s_mov_b32 s15, s10
	v_pk_mul_f32 v[0:1], v[0:1], s[10:11] op_sel_hi:[0,1]
	v_mov_b32_e32 v5, v11
	v_mov_b32_e32 v49, v13
	v_pk_fma_f32 v[0:1], v[60:61], s[14:15], v[0:1] op_sel_hi:[0,1,1] neg_lo:[0,0,1] neg_hi:[0,0,1]
	v_pk_fma_f32 v[4:5], v[6:7], s[12:13], v[4:5] op_sel_hi:[1,0,1]
	v_pk_add_f32 v[12:13], v[14:15], v[48:49]
	v_pk_add_f32 v[6:7], v[4:5], v[0:1]
	v_pk_add_f32 v[32:33], v[76:77], v[8:9] neg_lo:[0,1] neg_hi:[0,1]
	ds_write2_b64 v125, v[12:13], v[6:7] offset0:22 offset1:33
	v_pk_add_f32 v[6:7], v[76:77], v[8:9]
	v_pk_add_f32 v[8:9], v[66:67], v[46:47] neg_lo:[0,1] neg_hi:[0,1]
	ds_write2_b64 v125, v[6:7], v[8:9] offset0:44 offset1:55
	v_pk_add_f32 v[2:3], v[2:3], v[68:69] neg_lo:[0,1] neg_hi:[0,1]
	v_pk_add_f32 v[6:7], v[14:15], v[48:49] neg_lo:[0,1] neg_hi:[0,1]
	;; [unrolled: 1-line block ×3, first 2 shown]
	ds_write2_b64 v125, v[2:3], v[6:7] offset0:66 offset1:77
	ds_write2_b64 v125, v[0:1], v[32:33] offset0:88 offset1:99
	s_waitcnt lgkmcnt(0)
	s_barrier
	ds_read2_b64 v[8:11], v124 offset1:33
	ds_read2_b64 v[0:3], v124 offset0:66 offset1:110
	ds_read2_b64 v[12:15], v124 offset0:220 offset1:253
	ds_read2_b64 v[4:7], v124 offset0:143 offset1:176
	ds_read_b64 v[44:45], v124 offset:2288
	v_mov_b32_e32 v42, v24
	v_mov_b32_e32 v43, v24
	;; [unrolled: 1-line block ×12, first 2 shown]
	v_add_u32_e32 v47, 0x108, v126
	v_add_u32_e32 v46, 0x210, v126
	s_and_saveexec_b64 s[10:11], s[0:1]
	s_cbranch_execz .LBB0_19
; %bb.18:
	ds_read2_b64 v[32:35], v124 offset0:99 offset1:209
	ds_read_b64 v[62:63], v124 offset:2552
.LBB0_19:
	s_or_b64 exec, exec, s[10:11]
	s_waitcnt lgkmcnt(3)
	v_pk_mul_f32 v[24:25], v[24:25], v[2:3]
	s_waitcnt lgkmcnt(2)
	v_pk_mul_f32 v[26:27], v[26:27], v[12:13]
	v_pk_fma_f32 v[52:53], v[42:43], v[2:3], v[24:25] op_sel:[0,0,1] op_sel_hi:[1,1,0]
	v_pk_fma_f32 v[2:3], v[42:43], v[2:3], v[24:25] op_sel:[0,0,1] op_sel_hi:[1,1,0] neg_lo:[0,0,1] neg_hi:[0,0,1]
	s_mov_b32 s10, 0x3f5db3d7
	v_mov_b32_e32 v53, v3
	v_pk_fma_f32 v[2:3], v[40:41], v[12:13], v[26:27] op_sel:[0,0,1] op_sel_hi:[1,1,0]
	v_pk_fma_f32 v[12:13], v[40:41], v[12:13], v[26:27] op_sel:[0,0,1] op_sel_hi:[1,1,0] neg_lo:[0,0,1] neg_hi:[0,0,1]
	s_waitcnt lgkmcnt(1)
	v_pk_mul_f32 v[48:49], v[20:21], v[4:5] op_sel:[1,0]
	v_mov_b32_e32 v3, v13
	v_pk_add_f32 v[12:13], v[8:9], v[52:53]
	v_pk_add_f32 v[24:25], v[52:53], v[2:3]
	;; [unrolled: 1-line block ×3, first 2 shown]
	v_pk_add_f32 v[2:3], v[52:53], v[2:3] neg_lo:[0,1] neg_hi:[0,1]
	v_pk_fma_f32 v[8:9], v[24:25], 0.5, v[8:9] op_sel_hi:[1,0,1] neg_lo:[1,0,0] neg_hi:[1,0,0]
	v_pk_mul_f32 v[2:3], v[2:3], s[10:11] op_sel_hi:[1,0]
	v_pk_mul_f32 v[50:51], v[22:23], v[14:15] op_sel:[1,0]
	v_pk_add_f32 v[24:25], v[8:9], v[2:3] op_sel:[0,1] op_sel_hi:[1,0] neg_lo:[0,1] neg_hi:[0,1]
	v_pk_add_f32 v[2:3], v[8:9], v[2:3] op_sel:[0,1] op_sel_hi:[1,0]
	v_mov_b32_e32 v8, v24
	v_mov_b32_e32 v9, v3
	;; [unrolled: 1-line block ×3, first 2 shown]
	ds_write2_b64 v57, v[8:9], v[2:3] offset0:110 offset1:220
	v_pk_fma_f32 v[2:3], v[20:21], v[4:5], v[48:49] op_sel:[0,0,1] op_sel_hi:[1,1,0]
	v_pk_fma_f32 v[4:5], v[20:21], v[4:5], v[48:49] op_sel:[0,0,1] op_sel_hi:[0,1,0] neg_lo:[0,0,1] neg_hi:[0,0,1]
	v_mov_b32_e32 v3, v5
	v_pk_fma_f32 v[4:5], v[22:23], v[14:15], v[50:51] op_sel:[0,0,1] op_sel_hi:[1,1,0]
	v_pk_fma_f32 v[8:9], v[22:23], v[14:15], v[50:51] op_sel:[0,0,1] op_sel_hi:[0,1,0] neg_lo:[0,0,1] neg_hi:[0,0,1]
	v_mov_b32_e32 v5, v9
	v_pk_add_f32 v[8:9], v[10:11], v[2:3]
	v_pk_mul_f32 v[28:29], v[28:29], v[6:7]
	v_pk_add_f32 v[8:9], v[8:9], v[4:5]
	ds_write2_b64 v57, v[12:13], v[8:9] offset1:33
	v_pk_add_f32 v[8:9], v[2:3], v[4:5]
	v_pk_add_f32 v[2:3], v[2:3], v[4:5] neg_lo:[0,1] neg_hi:[0,1]
	v_pk_fma_f32 v[8:9], v[8:9], 0.5, v[10:11] op_sel_hi:[1,0,1] neg_lo:[1,0,0] neg_hi:[1,0,0]
	v_pk_mul_f32 v[2:3], v[2:3], s[10:11] op_sel_hi:[1,0]
	s_waitcnt lgkmcnt(2)
	v_pk_mul_f32 v[30:31], v[30:31], v[44:45]
	v_pk_add_f32 v[4:5], v[8:9], v[2:3] op_sel:[0,1] op_sel_hi:[1,0] neg_lo:[0,1] neg_hi:[0,1]
	v_pk_add_f32 v[2:3], v[8:9], v[2:3] op_sel:[0,1] op_sel_hi:[1,0]
	v_mov_b32_e32 v8, v4
	v_mov_b32_e32 v9, v3
	;; [unrolled: 1-line block ×3, first 2 shown]
	ds_write2_b64 v47, v[8:9], v[2:3] offset0:110 offset1:220
	v_pk_fma_f32 v[2:3], v[38:39], v[6:7], v[28:29] op_sel:[0,0,1] op_sel_hi:[1,1,0]
	v_pk_fma_f32 v[4:5], v[38:39], v[6:7], v[28:29] op_sel:[0,0,1] op_sel_hi:[1,1,0] neg_lo:[0,0,1] neg_hi:[0,0,1]
	v_pk_fma_f32 v[6:7], v[36:37], v[44:45], v[30:31] op_sel:[0,0,1] op_sel_hi:[1,1,0] neg_lo:[0,0,1] neg_hi:[0,0,1]
	v_mov_b32_e32 v3, v5
	v_pk_fma_f32 v[4:5], v[36:37], v[44:45], v[30:31] op_sel:[0,0,1] op_sel_hi:[1,1,0]
	s_nop 0
	v_mov_b32_e32 v5, v7
	v_pk_add_f32 v[6:7], v[0:1], v[2:3]
	s_nop 0
	v_pk_add_f32 v[6:7], v[6:7], v[4:5]
	ds_write_b64 v57, v[6:7] offset:528
	v_pk_add_f32 v[6:7], v[2:3], v[4:5]
	v_pk_add_f32 v[2:3], v[2:3], v[4:5] neg_lo:[0,1] neg_hi:[0,1]
	v_pk_fma_f32 v[0:1], v[6:7], 0.5, v[0:1] op_sel_hi:[1,0,1] neg_lo:[1,0,0] neg_hi:[1,0,0]
	v_pk_mul_f32 v[2:3], v[2:3], s[10:11] op_sel_hi:[1,0]
	s_nop 0
	v_pk_add_f32 v[4:5], v[0:1], v[2:3] op_sel:[0,1] op_sel_hi:[1,0] neg_lo:[0,1] neg_hi:[0,1]
	v_pk_add_f32 v[0:1], v[0:1], v[2:3] op_sel:[0,1] op_sel_hi:[1,0]
	v_mov_b32_e32 v2, v4
	v_mov_b32_e32 v3, v1
	;; [unrolled: 1-line block ×3, first 2 shown]
	ds_write2_b64 v46, v[2:3], v[0:1] offset0:110 offset1:220
	v_lshl_add_u32 v0, v122, 3, v59
	s_and_saveexec_b64 s[12:13], s[0:1]
	s_cbranch_execz .LBB0_21
; %bb.20:
	v_pk_mul_f32 v[2:3], v[16:17], v[34:35] op_sel:[0,1]
	v_mov_b32_e32 v4, v63
	v_pk_mul_f32 v[4:5], v[18:19], v[4:5] op_sel_hi:[1,0]
	v_pk_fma_f32 v[6:7], v[16:17], v[34:35], v[2:3] op_sel:[0,0,1] op_sel_hi:[1,1,0]
	v_pk_fma_f32 v[2:3], v[16:17], v[34:35], v[2:3] op_sel:[0,0,1] op_sel_hi:[1,0,0] neg_lo:[1,0,0] neg_hi:[1,0,0]
	s_nop 0
	v_mov_b32_e32 v7, v3
	v_pk_fma_f32 v[2:3], v[18:19], v[62:63], v[4:5] op_sel:[0,0,1] op_sel_hi:[1,1,0]
	v_pk_fma_f32 v[4:5], v[18:19], v[62:63], v[4:5] op_sel:[0,0,1] op_sel_hi:[1,0,0] neg_lo:[1,0,0] neg_hi:[1,0,0]
	s_nop 0
	v_mov_b32_e32 v3, v5
	v_pk_add_f32 v[4:5], v[32:33], v[6:7]
	v_pk_add_f32 v[8:9], v[6:7], v[2:3]
	;; [unrolled: 1-line block ×3, first 2 shown]
	v_pk_add_f32 v[2:3], v[6:7], v[2:3] neg_lo:[0,1] neg_hi:[0,1]
	v_pk_fma_f32 v[8:9], -0.5, v[8:9], v[32:33] op_sel_hi:[0,1,1]
	v_pk_mul_f32 v[2:3], v[2:3], s[10:11] op_sel_hi:[1,0]
	s_nop 0
	v_pk_add_f32 v[6:7], v[8:9], v[2:3] op_sel:[0,1] op_sel_hi:[1,0] neg_lo:[0,1] neg_hi:[0,1]
	v_pk_add_f32 v[2:3], v[8:9], v[2:3] op_sel:[0,1] op_sel_hi:[1,0]
	v_mov_b32_e32 v8, v6
	v_mov_b32_e32 v9, v3
	;; [unrolled: 1-line block ×3, first 2 shown]
	ds_write2_b64 v0, v[4:5], v[8:9] offset0:99 offset1:209
	ds_write_b64 v0, v[2:3] offset:2552
.LBB0_21:
	s_or_b64 exec, exec, s[12:13]
	s_waitcnt lgkmcnt(0)
	s_barrier
	s_and_b64 exec, exec, vcc
	s_cbranch_execz .LBB0_23
; %bb.22:
	global_load_dwordx2 v[10:11], v59, s[2:3]
	global_load_dwordx2 v[12:13], v59, s[2:3] offset:240
	global_load_dwordx2 v[14:15], v59, s[2:3] offset:480
	;; [unrolled: 1-line block ×4, first 2 shown]
	ds_read_b64 v[24:25], v57
	ds_read2_b64 v[2:5], v0 offset0:30 offset1:60
	ds_read2_b64 v[6:9], v0 offset0:90 offset1:120
	global_load_dwordx2 v[28:29], v59, s[2:3] offset:1200
	global_load_dwordx2 v[30:31], v59, s[2:3] offset:1440
	;; [unrolled: 1-line block ×3, first 2 shown]
	v_mov_b32_e32 v18, s8
	v_mov_b32_e32 v19, s9
	v_mad_u64_u32 v[26:27], s[8:9], s4, v56, 0
	v_mov_b32_e32 v36, v27
	v_mad_u64_u32 v[36:37], s[8:9], s5, v56, v[36:37]
	;; [unrolled: 2-line block ×4, first 2 shown]
	v_mov_b32_e32 v23, v34
	s_mov_b32 s0, 0x8d3018d3
	v_lshl_add_u64 v[18:19], v[22:23], 3, v[18:19]
	s_mov_b32 s1, 0x3f68d301
	v_mov_b32_e32 v38, 0xf0
	v_lshl_add_u64 v[18:19], v[26:27], 3, v[18:19]
	s_mul_i32 s6, s5, 0xf0
	v_mad_u64_u32 v[22:23], s[8:9], s4, v38, v[18:19]
	v_add_u32_e32 v23, s6, v23
	v_mad_u64_u32 v[26:27], s[8:9], s4, v38, v[22:23]
	v_add_u32_e32 v27, s6, v27
	;; [unrolled: 2-line block ×3, first 2 shown]
	s_waitcnt vmcnt(7) lgkmcnt(2)
	v_mul_f32_e32 v1, v25, v11
	s_waitcnt vmcnt(6) lgkmcnt(1)
	v_mul_f32_e32 v36, v3, v13
	s_waitcnt vmcnt(5)
	v_mul_f32_e32 v37, v5, v15
	v_mul_f32_e32 v11, v24, v11
	;; [unrolled: 1-line block ×3, first 2 shown]
	s_waitcnt vmcnt(4) lgkmcnt(0)
	v_mul_f32_e32 v39, v7, v17
	v_mul_f32_e32 v17, v6, v17
	v_fmac_f32_e32 v36, v2, v12
	v_fmac_f32_e32 v37, v4, v14
	;; [unrolled: 1-line block ×3, first 2 shown]
	v_fma_f32 v10, v10, v25, -v11
	v_fma_f32 v11, v12, v3, -v13
	v_fmac_f32_e32 v39, v6, v16
	v_fma_f32 v24, v16, v7, -v17
	v_cvt_f64_f32_e32 v[6:7], v36
	v_cvt_f64_f32_e32 v[12:13], v37
	global_load_dwordx2 v[36:37], v59, s[2:3] offset:1920
	v_mul_f32_e32 v15, v4, v15
	v_fma_f32 v14, v14, v5, -v15
	v_cvt_f64_f32_e32 v[2:3], v1
	v_cvt_f64_f32_e32 v[4:5], v10
	v_mul_f64 v[2:3], v[2:3], s[0:1]
	v_mul_f64 v[4:5], v[4:5], s[0:1]
	;; [unrolled: 1-line block ×4, first 2 shown]
	v_cvt_f32_f64_e32 v2, v[2:3]
	v_cvt_f32_f64_e32 v3, v[4:5]
	;; [unrolled: 1-line block ×4, first 2 shown]
	global_load_dwordx2 v[12:13], v59, s[2:3] offset:2160
	v_cvt_f64_f32_e32 v[10:11], v11
	v_cvt_f64_f32_e32 v[14:15], v14
	;; [unrolled: 1-line block ×4, first 2 shown]
	s_waitcnt vmcnt(5)
	v_mul_f32_e32 v1, v9, v21
	v_mul_f64 v[10:11], v[10:11], s[0:1]
	v_mul_f64 v[14:15], v[14:15], s[0:1]
	;; [unrolled: 1-line block ×4, first 2 shown]
	v_fmac_f32_e32 v1, v8, v20
	v_cvt_f32_f64_e32 v5, v[10:11]
	v_cvt_f32_f64_e32 v7, v[14:15]
	;; [unrolled: 1-line block ×4, first 2 shown]
	global_store_dwordx2 v[18:19], v[2:3], off
	global_store_dwordx2 v[22:23], v[4:5], off
	;; [unrolled: 1-line block ×4, first 2 shown]
	v_cvt_f64_f32_e32 v[2:3], v1
	v_mul_f32_e32 v1, v8, v21
	v_fma_f32 v1, v20, v9, -v1
	global_load_dwordx2 v[8:9], v59, s[2:3] offset:2400
	v_mul_f64 v[2:3], v[2:3], s[0:1]
	v_cvt_f32_f64_e32 v6, v[2:3]
	v_cvt_f64_f32_e32 v[2:3], v1
	v_mul_f64 v[2:3], v[2:3], s[0:1]
	v_cvt_f32_f64_e32 v7, v[2:3]
	ds_read2_b64 v[2:5], v0 offset0:150 offset1:180
	v_mad_u64_u32 v[10:11], s[2:3], s4, v38, v[34:35]
	v_add_u32_e32 v11, s6, v11
	global_store_dwordx2 v[10:11], v[6:7], off
	s_waitcnt vmcnt(10) lgkmcnt(0)
	v_mul_f32_e32 v1, v3, v29
	v_fmac_f32_e32 v1, v2, v28
	v_cvt_f64_f32_e32 v[6:7], v1
	v_mul_f32_e32 v1, v2, v29
	v_fma_f32 v1, v28, v3, -v1
	v_cvt_f64_f32_e32 v[2:3], v1
	s_waitcnt vmcnt(9)
	v_mul_f32_e32 v1, v5, v31
	v_mul_f64 v[6:7], v[6:7], s[0:1]
	v_mul_f64 v[2:3], v[2:3], s[0:1]
	v_fmac_f32_e32 v1, v4, v30
	v_cvt_f32_f64_e32 v6, v[6:7]
	v_cvt_f32_f64_e32 v7, v[2:3]
	v_mad_u64_u32 v[10:11], s[2:3], s4, v38, v[10:11]
	v_cvt_f64_f32_e32 v[2:3], v1
	v_mul_f32_e32 v1, v4, v31
	v_add_u32_e32 v11, s6, v11
	v_mul_f64 v[2:3], v[2:3], s[0:1]
	v_fma_f32 v1, v30, v5, -v1
	global_store_dwordx2 v[10:11], v[6:7], off
	v_cvt_f32_f64_e32 v6, v[2:3]
	v_cvt_f64_f32_e32 v[2:3], v1
	v_mul_f64 v[2:3], v[2:3], s[0:1]
	v_cvt_f32_f64_e32 v7, v[2:3]
	ds_read2_b64 v[2:5], v0 offset0:210 offset1:240
	v_mad_u64_u32 v[10:11], s[2:3], s4, v38, v[10:11]
	v_add_u32_e32 v11, s6, v11
	global_store_dwordx2 v[10:11], v[6:7], off
	s_waitcnt vmcnt(10) lgkmcnt(0)
	v_mul_f32_e32 v1, v3, v33
	v_fmac_f32_e32 v1, v2, v32
	v_cvt_f64_f32_e32 v[6:7], v1
	v_mul_f32_e32 v1, v2, v33
	v_fma_f32 v1, v32, v3, -v1
	v_cvt_f64_f32_e32 v[2:3], v1
	v_mul_f64 v[6:7], v[6:7], s[0:1]
	v_mul_f64 v[2:3], v[2:3], s[0:1]
	s_waitcnt vmcnt(9)
	v_mul_f32_e32 v1, v5, v37
	v_fmac_f32_e32 v1, v4, v36
	v_cvt_f32_f64_e32 v6, v[6:7]
	v_cvt_f32_f64_e32 v7, v[2:3]
	v_mad_u64_u32 v[10:11], s[2:3], s4, v38, v[10:11]
	v_cvt_f64_f32_e32 v[2:3], v1
	v_mul_f32_e32 v1, v4, v37
	v_add_u32_e32 v11, s6, v11
	v_mul_f64 v[2:3], v[2:3], s[0:1]
	v_fma_f32 v1, v36, v5, -v1
	global_store_dwordx2 v[10:11], v[6:7], off
	v_cvt_f32_f64_e32 v6, v[2:3]
	v_cvt_f64_f32_e32 v[2:3], v1
	v_mul_f64 v[2:3], v[2:3], s[0:1]
	v_add_u32_e32 v0, 0x800, v0
	v_cvt_f32_f64_e32 v7, v[2:3]
	ds_read2_b64 v[0:3], v0 offset0:14 offset1:44
	v_mad_u64_u32 v[4:5], s[2:3], s4, v38, v[10:11]
	v_add_u32_e32 v5, s6, v5
	global_store_dwordx2 v[4:5], v[6:7], off
	s_waitcnt vmcnt(10) lgkmcnt(0)
	v_mul_f32_e32 v6, v1, v13
	v_fmac_f32_e32 v6, v0, v12
	v_mul_f32_e32 v0, v0, v13
	v_fma_f32 v0, v12, v1, -v0
	v_cvt_f64_f32_e32 v[6:7], v6
	v_cvt_f64_f32_e32 v[0:1], v0
	v_mul_f64 v[6:7], v[6:7], s[0:1]
	v_mul_f64 v[0:1], v[0:1], s[0:1]
	v_cvt_f32_f64_e32 v6, v[6:7]
	v_cvt_f32_f64_e32 v7, v[0:1]
	v_mad_u64_u32 v[0:1], s[2:3], s4, v38, v[4:5]
	s_waitcnt vmcnt(5)
	v_mul_f32_e32 v4, v3, v9
	v_fmac_f32_e32 v4, v2, v8
	v_mul_f32_e32 v2, v2, v9
	v_fma_f32 v2, v8, v3, -v2
	v_add_u32_e32 v1, s6, v1
	v_cvt_f64_f32_e32 v[4:5], v4
	v_cvt_f64_f32_e32 v[2:3], v2
	global_store_dwordx2 v[0:1], v[6:7], off
	v_mul_f64 v[4:5], v[4:5], s[0:1]
	v_mul_f64 v[2:3], v[2:3], s[0:1]
	v_mad_u64_u32 v[0:1], s[0:1], s4, v38, v[0:1]
	v_cvt_f32_f64_e32 v4, v[4:5]
	v_cvt_f32_f64_e32 v5, v[2:3]
	v_add_u32_e32 v1, s6, v1
	global_store_dwordx2 v[0:1], v[4:5], off
.LBB0_23:
	s_endpgm
	.section	.rodata,"a",@progbits
	.p2align	6, 0x0
	.amdhsa_kernel bluestein_single_fwd_len330_dim1_sp_op_CI_CI
		.amdhsa_group_segment_fixed_size 7920
		.amdhsa_private_segment_fixed_size 0
		.amdhsa_kernarg_size 104
		.amdhsa_user_sgpr_count 2
		.amdhsa_user_sgpr_dispatch_ptr 0
		.amdhsa_user_sgpr_queue_ptr 0
		.amdhsa_user_sgpr_kernarg_segment_ptr 1
		.amdhsa_user_sgpr_dispatch_id 0
		.amdhsa_user_sgpr_kernarg_preload_length 0
		.amdhsa_user_sgpr_kernarg_preload_offset 0
		.amdhsa_user_sgpr_private_segment_size 0
		.amdhsa_uses_dynamic_stack 0
		.amdhsa_enable_private_segment 0
		.amdhsa_system_sgpr_workgroup_id_x 1
		.amdhsa_system_sgpr_workgroup_id_y 0
		.amdhsa_system_sgpr_workgroup_id_z 0
		.amdhsa_system_sgpr_workgroup_info 0
		.amdhsa_system_vgpr_workitem_id 0
		.amdhsa_next_free_vgpr 164
		.amdhsa_next_free_sgpr 46
		.amdhsa_accum_offset 164
		.amdhsa_reserve_vcc 1
		.amdhsa_float_round_mode_32 0
		.amdhsa_float_round_mode_16_64 0
		.amdhsa_float_denorm_mode_32 3
		.amdhsa_float_denorm_mode_16_64 3
		.amdhsa_dx10_clamp 1
		.amdhsa_ieee_mode 1
		.amdhsa_fp16_overflow 0
		.amdhsa_tg_split 0
		.amdhsa_exception_fp_ieee_invalid_op 0
		.amdhsa_exception_fp_denorm_src 0
		.amdhsa_exception_fp_ieee_div_zero 0
		.amdhsa_exception_fp_ieee_overflow 0
		.amdhsa_exception_fp_ieee_underflow 0
		.amdhsa_exception_fp_ieee_inexact 0
		.amdhsa_exception_int_div_zero 0
	.end_amdhsa_kernel
	.text
.Lfunc_end0:
	.size	bluestein_single_fwd_len330_dim1_sp_op_CI_CI, .Lfunc_end0-bluestein_single_fwd_len330_dim1_sp_op_CI_CI
                                        ; -- End function
	.section	.AMDGPU.csdata,"",@progbits
; Kernel info:
; codeLenInByte = 10536
; NumSgprs: 52
; NumVgprs: 164
; NumAgprs: 0
; TotalNumVgprs: 164
; ScratchSize: 0
; MemoryBound: 0
; FloatMode: 240
; IeeeMode: 1
; LDSByteSize: 7920 bytes/workgroup (compile time only)
; SGPRBlocks: 6
; VGPRBlocks: 20
; NumSGPRsForWavesPerEU: 52
; NumVGPRsForWavesPerEU: 164
; AccumOffset: 164
; Occupancy: 3
; WaveLimiterHint : 1
; COMPUTE_PGM_RSRC2:SCRATCH_EN: 0
; COMPUTE_PGM_RSRC2:USER_SGPR: 2
; COMPUTE_PGM_RSRC2:TRAP_HANDLER: 0
; COMPUTE_PGM_RSRC2:TGID_X_EN: 1
; COMPUTE_PGM_RSRC2:TGID_Y_EN: 0
; COMPUTE_PGM_RSRC2:TGID_Z_EN: 0
; COMPUTE_PGM_RSRC2:TIDIG_COMP_CNT: 0
; COMPUTE_PGM_RSRC3_GFX90A:ACCUM_OFFSET: 40
; COMPUTE_PGM_RSRC3_GFX90A:TG_SPLIT: 0
	.text
	.p2alignl 6, 3212836864
	.fill 256, 4, 3212836864
	.type	__hip_cuid_52973aa60688ff65,@object ; @__hip_cuid_52973aa60688ff65
	.section	.bss,"aw",@nobits
	.globl	__hip_cuid_52973aa60688ff65
__hip_cuid_52973aa60688ff65:
	.byte	0                               ; 0x0
	.size	__hip_cuid_52973aa60688ff65, 1

	.ident	"AMD clang version 19.0.0git (https://github.com/RadeonOpenCompute/llvm-project roc-6.4.0 25133 c7fe45cf4b819c5991fe208aaa96edf142730f1d)"
	.section	".note.GNU-stack","",@progbits
	.addrsig
	.addrsig_sym __hip_cuid_52973aa60688ff65
	.amdgpu_metadata
---
amdhsa.kernels:
  - .agpr_count:     0
    .args:
      - .actual_access:  read_only
        .address_space:  global
        .offset:         0
        .size:           8
        .value_kind:     global_buffer
      - .actual_access:  read_only
        .address_space:  global
        .offset:         8
        .size:           8
        .value_kind:     global_buffer
      - .actual_access:  read_only
        .address_space:  global
        .offset:         16
        .size:           8
        .value_kind:     global_buffer
      - .actual_access:  read_only
        .address_space:  global
        .offset:         24
        .size:           8
        .value_kind:     global_buffer
      - .actual_access:  read_only
        .address_space:  global
        .offset:         32
        .size:           8
        .value_kind:     global_buffer
      - .offset:         40
        .size:           8
        .value_kind:     by_value
      - .address_space:  global
        .offset:         48
        .size:           8
        .value_kind:     global_buffer
      - .address_space:  global
        .offset:         56
        .size:           8
        .value_kind:     global_buffer
      - .address_space:  global
        .offset:         64
        .size:           8
        .value_kind:     global_buffer
      - .address_space:  global
        .offset:         72
        .size:           8
        .value_kind:     global_buffer
      - .offset:         80
        .size:           4
        .value_kind:     by_value
      - .address_space:  global
        .offset:         88
        .size:           8
        .value_kind:     global_buffer
      - .address_space:  global
        .offset:         96
        .size:           8
        .value_kind:     global_buffer
    .group_segment_fixed_size: 7920
    .kernarg_segment_align: 8
    .kernarg_segment_size: 104
    .language:       OpenCL C
    .language_version:
      - 2
      - 0
    .max_flat_workgroup_size: 99
    .name:           bluestein_single_fwd_len330_dim1_sp_op_CI_CI
    .private_segment_fixed_size: 0
    .sgpr_count:     52
    .sgpr_spill_count: 0
    .symbol:         bluestein_single_fwd_len330_dim1_sp_op_CI_CI.kd
    .uniform_work_group_size: 1
    .uses_dynamic_stack: false
    .vgpr_count:     164
    .vgpr_spill_count: 0
    .wavefront_size: 64
amdhsa.target:   amdgcn-amd-amdhsa--gfx950
amdhsa.version:
  - 1
  - 2
...

	.end_amdgpu_metadata
